;; amdgpu-corpus repo=ROCm/rccl kind=compiled arch=gfx906 opt=O3
	.amdgcn_target "amdgcn-amd-amdhsa--gfx906"
	.amdhsa_code_object_version 6
	.text
	.p2align	2                               ; -- Begin function _ZN12_GLOBAL__N_17runRingI14__hip_fp8_e5m213FuncPreMulSumIS1_E7ProtoLLLi0ELi1ELi0EEEviiP15ncclDevWorkColl
	.type	_ZN12_GLOBAL__N_17runRingI14__hip_fp8_e5m213FuncPreMulSumIS1_E7ProtoLLLi0ELi1ELi0EEEviiP15ncclDevWorkColl,@function
_ZN12_GLOBAL__N_17runRingI14__hip_fp8_e5m213FuncPreMulSumIS1_E7ProtoLLLi0ELi1ELi0EEEviiP15ncclDevWorkColl: ; @_ZN12_GLOBAL__N_17runRingI14__hip_fp8_e5m213FuncPreMulSumIS1_E7ProtoLLLi0ELi1ELi0EEEviiP15ncclDevWorkColl
; %bb.0:
	s_waitcnt vmcnt(0) expcnt(0) lgkmcnt(0)
	s_or_saveexec_b64 s[4:5], -1
	buffer_store_dword v63, off, s[0:3], s32 offset:268 ; 4-byte Folded Spill
	s_mov_b64 exec, s[4:5]
	buffer_store_dword v40, off, s[0:3], s32 offset:56 ; 4-byte Folded Spill
	buffer_store_dword v41, off, s[0:3], s32 offset:52 ; 4-byte Folded Spill
	;; [unrolled: 1-line block ×14, first 2 shown]
	buffer_store_dword v62, off, s[0:3], s32 ; 4-byte Folded Spill
	v_writelane_b32 v63, s34, 0
	v_writelane_b32 v63, s35, 1
	;; [unrolled: 1-line block ×14, first 2 shown]
	s_trap 2
	flat_load_dword v6, v[2:3]
	flat_load_dwordx4 v[24:27], v[2:3] offset:72
	flat_load_dwordx2 v[17:18], v[2:3] offset:88
	v_mov_b32_e32 v10, v0
	ds_read_b32 v4, v0
	s_waitcnt lgkmcnt(0)
	v_readfirstlane_b32 s20, v4
	s_waitcnt vmcnt(0)
	v_not_b32_sdwa v5, v6 dst_sel:DWORD dst_unused:UNUSED_PAD src0_sel:BYTE_0
	v_add_u32_sdwa v0, v6, v5 dst_sel:DWORD dst_unused:UNUSED_PAD src0_sel:BYTE_1 src1_sel:DWORD
	v_ashrrev_i32_e32 v7, 31, v0
	v_mul_lo_u32 v8, v27, v0
	v_mad_u64_u32 v[19:20], s[4:5], v26, v0, 0
	v_mul_lo_u32 v0, v26, v7
	v_cmp_ne_u32_sdwa s[4:5], v4, v6 src0_sel:DWORD src1_sel:BYTE_0
	ds_read_b64 v[60:61], v0
	v_add3_u32 v0, v20, v0, v8
                                        ; implicit-def: $vgpr20_vgpr21
                                        ; implicit-def: $vgpr7_vgpr8
                                        ; kill: killed $vgpr7_vgpr8
	s_and_saveexec_b64 s[6:7], s[4:5]
	s_xor_b64 s[4:5], exec, s[6:7]
	s_cbranch_execz .LBB0_6
; %bb.1:
	v_cmp_ne_u32_sdwa s[6:7], v4, v6 src0_sel:DWORD src1_sel:BYTE_1
                                        ; implicit-def: $vgpr20_vgpr21
                                        ; implicit-def: $vgpr6_vgpr7
                                        ; kill: killed $vgpr6_vgpr7
	s_and_saveexec_b64 s[10:11], s[6:7]
	s_xor_b64 s[6:7], exec, s[10:11]
	s_cbranch_execz .LBB0_3
; %bb.2:
	flat_load_dwordx2 v[6:7], v[2:3] offset:96
	v_add_u32_e32 v4, v4, v5
	v_ashrrev_i32_e32 v5, 31, v4
	v_mul_lo_u32 v5, v26, v5
	v_mul_lo_u32 v8, v27, v4
	v_mad_u64_u32 v[11:12], s[10:11], v26, v4, v[24:25]
	v_add3_u32 v12, v8, v12, v5
	buffer_store_dword v11, off, s[0:3], s32 offset:156 ; 4-byte Folded Spill
	s_nop 0
	buffer_store_dword v12, off, s[0:3], s32 offset:160 ; 4-byte Folded Spill
	s_waitcnt vmcnt(0) lgkmcnt(0)
	v_lshrrev_b64 v[20:21], 17, v[6:7]
.LBB0_3:
	s_andn2_saveexec_b64 s[6:7], s[6:7]
	s_cbranch_execz .LBB0_5
; %bb.4:
	flat_load_dword v4, v[2:3] offset:100
	v_add_co_u32_e32 v5, vcc, v19, v24
	v_mov_b32_e32 v27, v18
	v_addc_co_u32_e32 v6, vcc, v0, v25, vcc
	v_mov_b32_e32 v26, v17
	buffer_store_dword v5, off, s[0:3], s32 offset:156 ; 4-byte Folded Spill
	s_nop 0
	buffer_store_dword v6, off, s[0:3], s32 offset:160 ; 4-byte Folded Spill
	s_waitcnt vmcnt(0) lgkmcnt(0)
	v_lshrrev_b32_e32 v20, 6, v4
.LBB0_5:
	s_or_b64 exec, exec, s[6:7]
.LBB0_6:
	s_andn2_saveexec_b64 s[4:5], s[4:5]
	s_cbranch_execz .LBB0_8
; %bb.7:
	flat_load_dwordx2 v[4:5], v[2:3] offset:96
	v_mov_b32_e32 v27, v25
	v_mov_b32_e32 v26, v24
	s_waitcnt vmcnt(0) lgkmcnt(0)
	v_lshlrev_b64 v[20:21], 4, v[4:5]
	v_mov_b32_e32 v4, 0
	v_mov_b32_e32 v5, 0
	buffer_store_dword v4, off, s[0:3], s32 offset:156 ; 4-byte Folded Spill
	s_nop 0
	buffer_store_dword v5, off, s[0:3], s32 offset:160 ; 4-byte Folded Spill
.LBB0_8:
	s_or_b64 exec, exec, s[4:5]
	flat_load_dwordx4 v[4:7], v[2:3] offset:16
	s_mov_b32 s13, 0
	v_mov_b32_e32 v62, 0
	s_waitcnt vmcnt(0) lgkmcnt(0)
	buffer_store_dword v4, off, s[0:3], s32 offset:204 ; 4-byte Folded Spill
	s_nop 0
	buffer_store_dword v5, off, s[0:3], s32 offset:208 ; 4-byte Folded Spill
	buffer_store_dword v6, off, s[0:3], s32 offset:212 ; 4-byte Folded Spill
	;; [unrolled: 1-line block ×3, first 2 shown]
	flat_load_dwordx2 v[15:16], v[2:3] offset:104
	flat_load_ushort v14, v[2:3] offset:8
	flat_load_dword v13, v[2:3] offset:4
	v_mov_b32_e32 v2, 0
	s_waitcnt vmcnt(0) lgkmcnt(0)
	v_cmp_ne_u16_sdwa s[6:7], v15, v2 src0_sel:BYTE_0 src1_sel:DWORD
	s_and_saveexec_b64 s[4:5], s[6:7]
	s_cbranch_execz .LBB0_16
; %bb.9:
	v_bfe_i32 v3, v15, 0, 8
	s_movk_i32 s6, 0xff80
	v_cmp_ne_u16_e32 vcc, s6, v3
	v_bfrev_b32_e32 v62, 1
	s_and_saveexec_b64 s[6:7], vcc
	s_cbranch_execz .LBB0_15
; %bb.10:
	s_movk_i32 s10, 0x7c
	v_and_b32_e32 v5, 0x7c, v15
	v_and_b32_e32 v4, 3, v15
	v_cmp_ne_u32_e32 vcc, s10, v5
                                        ; implicit-def: $vgpr62
	s_and_saveexec_b64 s[10:11], vcc
	s_xor_b64 s[10:11], exec, s[10:11]
	s_cbranch_execz .LBB0_12
; %bb.11:
	v_ffbh_u32_e32 v5, v4
	v_min_u32_e32 v8, 32, v5
	v_subrev_u32_e32 v5, 29, v8
	v_bfe_u32 v7, v15, 2, 5
	v_lshlrev_b64 v[5:6], v5, v[15:16]
	v_sub_u32_e32 v6, 30, v8
	v_cmp_eq_u32_e32 vcc, 0, v7
	s_brev_b32 s14, 1
	v_and_b32_e32 v5, 3, v5
	v_cndmask_b32_e32 v6, v7, v6, vcc
	v_and_b32_sdwa v3, sext(v3), s14 dst_sel:DWORD dst_unused:UNUSED_PAD src0_sel:WORD_0 src1_sel:DWORD
	v_cndmask_b32_e32 v4, v4, v5, vcc
	v_lshl_add_u32 v3, v6, 23, v3
	v_lshl_or_b32 v3, v4, 21, v3
	v_add_u32_e32 v62, 0x38000000, v3
                                        ; implicit-def: $vgpr4
                                        ; implicit-def: $vgpr3
.LBB0_12:
	s_andn2_saveexec_b64 s[10:11], s[10:11]
; %bb.13:
	v_mov_b32_e32 v5, 0xff800000
	v_mov_b32_e32 v6, 0x7f800000
	v_cmp_lt_i16_e32 vcc, -1, v3
	v_cndmask_b32_e32 v3, v5, v6, vcc
	v_mov_b32_e32 v5, 0x7f800001
	v_cmp_eq_u32_e32 vcc, 0, v4
	v_cndmask_b32_e32 v62, v5, v3, vcc
; %bb.14:
	s_or_b64 exec, exec, s[10:11]
.LBB0_15:
	s_or_b64 exec, exec, s[6:7]
.LBB0_16:
	s_or_b64 exec, exec, s[4:5]
	s_load_dword s4, s[8:9], 0x0
	v_lshrrev_b64 v[3:4], 31, v[13:14]
	v_and_b32_e32 v4, 63, v10
	v_mov_b32_e32 v8, 0
	v_and_b32_e32 v5, 3, v3
	s_waitcnt lgkmcnt(0)
	s_cmp_lt_u32 s12, s4
	s_cselect_b32 s4, 12, 18
	s_add_u32 s4, s8, s4
	s_addc_u32 s5, s9, 0
	global_load_ushort v11, v2, s[4:5]
	s_trap 2
	ds_read_b32 v2, v0
	v_mov_b32_e32 v9, 0
	v_cmp_eq_u32_e64 s[4:5], 0, v4
	s_waitcnt lgkmcnt(0)
	v_cmp_gt_i32_e32 vcc, 0, v2
	v_readfirstlane_b32 s8, v2
	s_cbranch_vccnz .LBB0_18
; %bb.17:
	s_trap 2
	ds_read_b64 v[6:7], v0
	v_mov_b32_e32 v3, 0
	v_lshlrev_b64 v[2:3], 3, v[2:3]
	s_movk_i32 s6, 0xa8
	s_mov_b32 s13, 1
	s_waitcnt lgkmcnt(0)
	v_add_co_u32_e32 v2, vcc, v6, v2
	v_addc_co_u32_e32 v3, vcc, v7, v3, vcc
	flat_load_dwordx2 v[2:3], v[2:3]
	v_and_b32_e32 v6, 0xffff, v5
	s_waitcnt vmcnt(0) lgkmcnt(0)
	v_mad_u64_u32 v[2:3], s[6:7], v6, s6, v[2:3]
	flat_load_dwordx2 v[6:7], v[2:3] offset:504
	v_add_co_u32_e32 v28, vcc, 0x1f8, v2
	v_addc_co_u32_e32 v29, vcc, 0, v3, vcc
	s_waitcnt vmcnt(0) lgkmcnt(0)
	buffer_store_dword v6, off, s[0:3], s32 offset:104 ; 4-byte Folded Spill
	s_nop 0
	buffer_store_dword v7, off, s[0:3], s32 offset:108 ; 4-byte Folded Spill
	flat_load_dwordx2 v[34:35], v[2:3] offset:608
	v_cndmask_b32_e64 v3, 0, v29, s[4:5]
	v_cndmask_b32_e64 v2, 0, v28, s[4:5]
	s_branch .LBB0_19
.LBB0_18:
	v_mov_b32_e32 v28, 0
	v_mov_b32_e32 v2, 0
	;; [unrolled: 1-line block ×4, first 2 shown]
                                        ; implicit-def: $vgpr34_vgpr35
                                        ; implicit-def: $vgpr6_vgpr7
                                        ; kill: killed $vgpr6_vgpr7
.LBB0_19:
	s_trap 2
	ds_read_b32 v13, v0
	s_waitcnt lgkmcnt(0)
	v_cmp_gt_i32_e32 vcc, 0, v13
	s_cbranch_vccnz .LBB0_21
; %bb.20:
	s_trap 2
	ds_read_b64 v[6:7], v0
	v_mov_b32_e32 v14, 0
	v_lshlrev_b64 v[8:9], 3, v[13:14]
	v_and_b32_e32 v5, 0xffff, v5
	s_movk_i32 s4, 0xa8
	s_waitcnt lgkmcnt(0)
	v_add_co_u32_e32 v6, vcc, v6, v8
	v_addc_co_u32_e32 v7, vcc, v7, v9, vcc
	flat_load_dwordx2 v[6:7], v[6:7]
	v_cmp_eq_u32_e32 vcc, 0, v4
	s_waitcnt vmcnt(0) lgkmcnt(0)
	v_mad_u64_u32 v[8:9], s[4:5], v5, s4, v[6:7]
	flat_load_dwordx2 v[5:6], v[8:9]
	v_cndmask_b32_e32 v16, 0, v9, vcc
	v_cndmask_b32_e32 v15, 0, v8, vcc
	s_waitcnt vmcnt(0) lgkmcnt(0)
	buffer_store_dword v5, off, s[0:3], s32 offset:76 ; 4-byte Folded Spill
	s_nop 0
	buffer_store_dword v6, off, s[0:3], s32 offset:80 ; 4-byte Folded Spill
	flat_load_dwordx2 v[21:22], v[8:9] offset:104
	s_branch .LBB0_22
.LBB0_21:
	v_mov_b32_e32 v15, 0
	v_mov_b32_e32 v16, 0
                                        ; implicit-def: $vgpr21_vgpr22
                                        ; implicit-def: $vgpr5_vgpr6
                                        ; kill: killed $vgpr5_vgpr6
.LBB0_22:
	v_subrev_u32_e32 v5, 64, v1
	v_cmp_ge_i32_e32 vcc, v10, v5
	v_cmp_gt_u32_e64 s[4:5], s13, v4
	v_mov_b32_e32 v13, 0
	v_mov_b32_e32 v4, 0
	;; [unrolled: 1-line block ×4, first 2 shown]
	s_and_b64 s[22:23], vcc, s[4:5]
	buffer_store_dword v4, off, s[0:3], s32 offset:96 ; 4-byte Folded Spill
	s_nop 0
	buffer_store_dword v5, off, s[0:3], s32 offset:100 ; 4-byte Folded Spill
                                        ; implicit-def: $vgpr43_vgpr44
	s_and_saveexec_b64 s[4:5], s[22:23]
	s_cbranch_execz .LBB0_24
; %bb.23:
	flat_load_dwordx2 v[4:5], v[2:3] offset:56
	s_waitcnt vmcnt(0) lgkmcnt(0)
	buffer_store_dword v4, off, s[0:3], s32 offset:96 ; 4-byte Folded Spill
	s_nop 0
	buffer_store_dword v5, off, s[0:3], s32 offset:100 ; 4-byte Folded Spill
	flat_load_dwordx2 v[43:44], v[2:3] offset:104
.LBB0_24:
	s_or_b64 exec, exec, s[4:5]
	v_mov_b32_e32 v50, 0
	v_mov_b32_e32 v51, 0
	v_cmp_gt_u32_e64 s[4:5], s13, v10
                                        ; implicit-def: $vgpr52_vgpr53
	s_and_saveexec_b64 s[6:7], s[4:5]
	s_cbranch_execz .LBB0_26
; %bb.25:
	flat_load_dwordx2 v[50:51], v[15:16] offset:56
	s_waitcnt vmcnt(0) lgkmcnt(0)
	flat_load_dwordx2 v[52:53], v[50:51] glc
	s_waitcnt vmcnt(0)
	flat_load_dwordx4 v[13:16], v[15:16] offset:96
.LBB0_26:
	s_or_b64 exec, exec, s[6:7]
	v_mov_b32_e32 v40, 0
	v_cmp_ne_u64_e32 vcc, 0, v[26:27]
	v_mov_b32_e32 v41, 0
	s_and_saveexec_b64 s[24:25], vcc
	s_cbranch_execnz .LBB0_30
; %bb.27:
	s_or_b64 exec, exec, s[24:25]
	s_and_saveexec_b64 s[6:7], s[22:23]
	s_cbranch_execnz .LBB0_1469
.LBB0_28:
	s_or_b64 exec, exec, s[6:7]
	s_and_saveexec_b64 s[6:7], s[4:5]
	s_cbranch_execnz .LBB0_1470
.LBB0_29:
	s_or_b64 exec, exec, s[6:7]
	v_cmp_ne_u32_e32 vcc, 64, v1
	s_and_saveexec_b64 s[4:5], vcc
	s_cbranch_execnz .LBB0_1471
	s_branch .LBB0_1488
.LBB0_30:
	v_add_co_u32_e32 v2, vcc, v17, v24
	s_ashr_i32 s6, s8, 31
	v_addc_co_u32_e32 v4, vcc, v18, v25, vcc
	s_lshr_b32 s6, s6, 29
	v_add_co_u32_e32 v2, vcc, v2, v19
	s_ashr_i32 s21, s20, 31
	s_add_i32 s8, s8, s6
	v_addc_co_u32_e32 v0, vcc, v4, v0, vcc
	s_lshl_b64 s[6:7], s[20:21], 2
	buffer_store_dword v28, off, s[0:3], s32 offset:260 ; 4-byte Folded Spill
	s_nop 0
	buffer_store_dword v29, off, s[0:3], s32 offset:264 ; 4-byte Folded Spill
	buffer_store_dword v8, off, s[0:3], s32 offset:252 ; 4-byte Folded Spill
	s_nop 0
	buffer_store_dword v9, off, s[0:3], s32 offset:256 ; 4-byte Folded Spill
	buffer_store_dword v2, off, s[0:3], s32 offset:88 ; 4-byte Folded Spill
	;; [unrolled: 1-line block ×3, first 2 shown]
	v_mov_b32_e32 v0, s7
	v_add_co_u32_e32 v2, vcc, s6, v60
	v_addc_co_u32_e32 v0, vcc, v61, v0, vcc
	v_add_co_u32_e32 v4, vcc, -4, v2
	v_addc_co_u32_e32 v5, vcc, -1, v0, vcc
	v_and_b32_e32 v0, 63, v31
	v_cmp_eq_u32_e64 s[12:13], 0, v0
	v_lshrrev_b32_e32 v0, 6, v1
	buffer_store_dword v4, off, s[0:3], s32 offset:188 ; 4-byte Folded Spill
	s_nop 0
	buffer_store_dword v5, off, s[0:3], s32 offset:192 ; 4-byte Folded Spill
	s_waitcnt vmcnt(0)
	buffer_store_dword v11, off, s[0:3], s32 offset:248 ; 4-byte Folded Spill
	buffer_store_dword v31, off, s[0:3], s32 offset:244 ; 4-byte Folded Spill
	;; [unrolled: 1-line block ×3, first 2 shown]
	buffer_load_dword v4, off, s[0:3], s32 offset:204 ; 4-byte Folded Reload
	buffer_load_dword v5, off, s[0:3], s32 offset:208 ; 4-byte Folded Reload
	;; [unrolled: 1-line block ×4, first 2 shown]
	v_cmp_ne_u32_sdwa s[40:41], v1, v11 src0_sel:DWORD src1_sel:WORD_0
	v_lshlrev_b32_e32 v11, 3, v10
	s_ashr_i32 s10, s8, 3
	s_and_b32 s21, s10, -16
	v_cmp_ne_u32_e64 s[10:11], 64, v1
	v_lshlrev_b32_e32 v25, 3, v1
	v_mov_b32_e32 v3, 0
	s_ashr_i32 s36, s8, 7
	v_cmp_ne_u64_e64 s[6:7], 0, v[50:51]
	s_waitcnt lgkmcnt(0)
	v_cmp_ne_u64_e64 s[8:9], 0, v[13:14]
	s_cmp_gt_i32 s20, 2
	s_mov_b32 s46, -1
	v_mov_b32_e32 v58, 0
	v_mov_b32_e32 v40, 0
	;; [unrolled: 1-line block ×3, first 2 shown]
	v_and_b32_e32 v28, 0x1fffff0, v20
	s_mov_b32 s27, 0
	v_mov_b32_e32 v29, v3
	s_mov_b64 s[28:29], 0
	s_cselect_b64 s[42:43], -1, 0
	s_mov_b64 s[44:45], 0x7ffffff8
	s_movk_i32 s37, 0xff
	s_movk_i32 s38, 0xff80
	;; [unrolled: 1-line block ×3, first 2 shown]
	s_mov_b32 s47, 0xffffff
	s_mov_b64 s[56:57], 0x7f800000
	s_movk_i32 s48, 0x80
	s_mov_b64 s[58:59], 0x47600001
	s_movk_i32 s49, 0x72
	;; [unrolled: 2-line block ×3, first 2 shown]
	s_mov_b32 s51, 0x7c0000
	s_brev_b32 s52, 62
	v_mov_b32_e32 v54, 0x7f800000
	v_mov_b32_e32 v55, 0x7f800001
	;; [unrolled: 1-line block ×4, first 2 shown]
	v_bfrev_b32_e32 v49, 0.5
	v_mov_b32_e32 v59, 0
	v_mov_b32_e32 v41, 0
	;; [unrolled: 1-line block ×3, first 2 shown]
	s_waitcnt vmcnt(1)
	v_add_co_u32_e32 v0, vcc, v6, v11
	buffer_store_dword v0, off, s[0:3], s32 offset:220 ; 4-byte Folded Spill
	s_waitcnt vmcnt(1)
	v_addc_co_u32_e32 v0, vcc, 0, v7, vcc
	buffer_store_dword v0, off, s[0:3], s32 offset:224 ; 4-byte Folded Spill
	v_add_co_u32_e32 v0, vcc, v4, v11
	buffer_load_dword v8, off, s[0:3], s32 offset:96 ; 4-byte Folded Reload
	buffer_load_dword v9, off, s[0:3], s32 offset:100 ; 4-byte Folded Reload
	s_waitcnt vmcnt(0)
	v_cmp_ne_u64_e64 s[14:15], 0, v[8:9]
	buffer_store_dword v0, off, s[0:3], s32 offset:228 ; 4-byte Folded Spill
	v_addc_co_u32_e32 v0, vcc, 0, v5, vcc
	buffer_store_dword v0, off, s[0:3], s32 offset:232 ; 4-byte Folded Spill
	buffer_load_dword v4, off, s[0:3], s32 offset:156 ; 4-byte Folded Reload
	buffer_load_dword v5, off, s[0:3], s32 offset:160 ; 4-byte Folded Reload
	v_mov_b32_e32 v8, 0xff800000
	buffer_store_dword v11, off, s[0:3], s32 offset:152 ; 4-byte Folded Spill
	v_mov_b32_e32 v9, 0
	s_waitcnt vmcnt(2)
	v_add_co_u32_e32 v0, vcc, v4, v6
	s_waitcnt vmcnt(1)
	v_addc_co_u32_e32 v2, vcc, v5, v7, vcc
	v_add_co_u32_e32 v4, vcc, v0, v11
	v_addc_co_u32_e32 v5, vcc, 0, v2, vcc
	v_lshlrev_b32_e32 v0, 6, v1
	buffer_store_dword v4, off, s[0:3], s32 offset:136 ; 4-byte Folded Spill
	s_nop 0
	buffer_store_dword v5, off, s[0:3], s32 offset:140 ; 4-byte Folded Spill
	buffer_store_dword v0, off, s[0:3], s32 offset:84 ; 4-byte Folded Spill
	v_mov_b32_e32 v0, v10
	buffer_store_dword v0, off, s[0:3], s32 offset:60 ; 4-byte Folded Spill
	s_nop 0
	buffer_store_dword v1, off, s[0:3], s32 offset:64 ; 4-byte Folded Spill
	buffer_load_dword v6, off, s[0:3], s32 offset:76 ; 4-byte Folded Reload
	buffer_load_dword v7, off, s[0:3], s32 offset:80 ; 4-byte Folded Reload
	v_mov_b32_e32 v11, v3
	v_lshlrev_b64 v[4:5], 4, v[10:11]
	v_mov_b32_e32 v2, v3
	v_mov_b32_e32 v11, 0x7c
	s_waitcnt vmcnt(1)
	v_add_co_u32_e32 v0, vcc, v6, v4
	buffer_store_dword v0, off, s[0:3], s32 offset:236 ; 4-byte Folded Spill
	s_waitcnt vmcnt(1)
	v_addc_co_u32_e32 v0, vcc, v7, v5, vcc
	v_lshlrev_b64 v[5:6], 4, v[1:2]
	v_mov_b32_e32 v7, -1
	buffer_store_dword v0, off, s[0:3], s32 offset:240 ; 4-byte Folded Spill
	buffer_store_dword v15, off, s[0:3], s32 offset:164 ; 4-byte Folded Spill
	s_nop 0
	buffer_store_dword v16, off, s[0:3], s32 offset:168 ; 4-byte Folded Spill
	buffer_store_dword v17, off, s[0:3], s32 offset:172 ; 4-byte Folded Spill
	;; [unrolled: 1-line block ×4, first 2 shown]
	s_nop 0
	buffer_store_dword v29, off, s[0:3], s32 offset:184 ; 4-byte Folded Spill
	buffer_store_dword v60, off, s[0:3], s32 offset:120 ; 4-byte Folded Spill
	s_nop 0
	buffer_store_dword v61, off, s[0:3], s32 offset:124 ; 4-byte Folded Spill
	s_branch .LBB0_32
.LBB0_31:                               ;   in Loop: Header=BB0_32 Depth=1
	s_or_b64 exec, exec, s[16:17]
	buffer_load_dword v17, off, s[0:3], s32 offset:136 ; 4-byte Folded Reload
	buffer_load_dword v18, off, s[0:3], s32 offset:140 ; 4-byte Folded Reload
	v_add_co_u32_e32 v34, vcc, 1, v34
	v_addc_co_u32_e32 v35, vcc, 0, v35, vcc
	v_add_co_u32_e32 v58, vcc, v58, v28
	v_addc_co_u32_e32 v59, vcc, 0, v59, vcc
	s_waitcnt vmcnt(0)
	v_add_co_u32_e32 v17, vcc, v17, v28
	v_addc_co_u32_e32 v18, vcc, 0, v18, vcc
	v_cmp_ge_u64_e32 vcc, v[58:59], v[26:27]
	buffer_store_dword v17, off, s[0:3], s32 offset:136 ; 4-byte Folded Spill
	s_nop 0
	buffer_store_dword v18, off, s[0:3], s32 offset:140 ; 4-byte Folded Spill
	s_or_b64 s[28:29], vcc, s[28:29]
	s_andn2_b64 exec, exec, s[28:29]
	s_cbranch_execz .LBB0_1468
.LBB0_32:                               ; =>This Loop Header: Depth=1
                                        ;     Child Loop BB0_37 Depth 2
                                        ;     Child Loop BB0_56 Depth 2
	;; [unrolled: 1-line block ×5, first 2 shown]
                                        ;       Child Loop BB0_310 Depth 3
                                        ;       Child Loop BB0_329 Depth 3
	;; [unrolled: 1-line block ×3, first 2 shown]
                                        ;         Child Loop BB0_358 Depth 4
                                        ;       Child Loop BB0_885 Depth 3
                                        ;       Child Loop BB0_346 Depth 3
                                        ;     Child Loop BB0_900 Depth 2
                                        ;       Child Loop BB0_908 Depth 3
                                        ;     Child Loop BB0_1455 Depth 2
	buffer_load_dword v17, off, s[0:3], s32 offset:188 ; 4-byte Folded Reload
	buffer_load_dword v18, off, s[0:3], s32 offset:192 ; 4-byte Folded Reload
	s_waitcnt vmcnt(0) lgkmcnt(0)
	flat_load_dword v0, v[17:18]
	v_sub_co_u32_e32 v17, vcc, v26, v58
	v_subb_co_u32_e32 v18, vcc, v27, v59, vcc
	v_cmp_lt_u64_e32 vcc, v[28:29], v[17:18]
	v_cndmask_b32_e32 v4, v17, v28, vcc
	v_lshl_add_u32 v2, v4, 1, 14
	v_and_b32_e32 v2, 0x7fffff0, v2
	buffer_store_dword v2, off, s[0:3], s32 offset:128 ; 4-byte Folded Spill
	s_and_saveexec_b64 s[18:19], s[6:7]
	s_cbranch_execz .LBB0_48
; %bb.33:                               ;   in Loop: Header=BB0_32 Depth=1
	v_add_co_u32_e32 v17, vcc, 1, v15
	v_addc_co_u32_e32 v18, vcc, 0, v16, vcc
	v_add_co_u32_e32 v19, vcc, 8, v52
	v_addc_co_u32_e32 v20, vcc, 0, v53, vcc
	v_cmp_lt_u64_e32 vcc, v[19:20], v[17:18]
	s_and_saveexec_b64 s[62:63], vcc
	s_cbranch_execz .LBB0_45
; %bb.34:                               ;   in Loop: Header=BB0_32 Depth=1
	s_mov_b32 s26, 0
	v_cmp_eq_u32_e32 vcc, 0, v9
	s_mov_b64 s[72:73], 0
                                        ; implicit-def: $sgpr74_sgpr75
                                        ; implicit-def: $sgpr76_sgpr77
                                        ; implicit-def: $sgpr78_sgpr79
	s_branch .LBB0_37
.LBB0_35:                               ;   in Loop: Header=BB0_37 Depth=2
	s_or_b64 exec, exec, s[30:31]
	s_andn2_b64 s[16:17], s[78:79], exec
	s_and_b64 s[78:79], s[92:93], exec
	s_or_b64 s[78:79], s[16:17], s[78:79]
	s_andn2_b64 s[16:17], s[76:77], exec
	s_and_b64 s[76:77], s[90:91], exec
	s_or_b64 s[76:77], s[16:17], s[76:77]
.LBB0_36:                               ;   in Loop: Header=BB0_37 Depth=2
	s_or_b64 exec, exec, s[88:89]
	s_and_b64 s[16:17], exec, s[76:77]
	s_or_b64 s[72:73], s[16:17], s[72:73]
	s_andn2_b64 s[16:17], s[74:75], exec
	s_and_b64 s[74:75], s[78:79], exec
	s_or_b64 s[74:75], s[16:17], s[74:75]
	s_andn2_b64 exec, exec, s[72:73]
	s_cbranch_execz .LBB0_42
.LBB0_37:                               ;   Parent Loop BB0_32 Depth=1
                                        ; =>  This Inner Loop Header: Depth=2
	s_sleep 1
	s_waitcnt vmcnt(0) lgkmcnt(0)
	flat_load_dwordx2 v[52:53], v[50:51] glc
	v_mov_b32_e32 v9, 1
	s_or_b64 s[78:79], s[78:79], exec
	s_or_b64 s[76:77], s[76:77], exec
                                        ; implicit-def: $vgpr2
	s_and_saveexec_b64 s[88:89], vcc
	s_cbranch_execz .LBB0_36
; %bb.38:                               ;   in Loop: Header=BB0_37 Depth=2
	s_add_i32 s26, s26, 1
	s_cmpk_lg_i32 s26, 0x2710
	s_cselect_b64 s[94:95], -1, 0
	s_cmpk_eq_i32 s26, 0x2710
	s_mov_b64 s[90:91], -1
	s_mov_b64 s[92:93], -1
                                        ; implicit-def: $vgpr2
	s_cbranch_scc1 .LBB0_40
; %bb.39:                               ;   in Loop: Header=BB0_37 Depth=2
	v_mov_b32_e32 v9, 1
	s_and_saveexec_b64 s[30:31], s[94:95]
	s_cbranch_execz .LBB0_35
	s_branch .LBB0_41
.LBB0_40:                               ;   in Loop: Header=BB0_37 Depth=2
	s_trap 2
	s_waitcnt vmcnt(0) lgkmcnt(0)
	ds_read_b64 v[9:10], v0
	s_andn2_b64 s[94:95], s[94:95], exec
	s_mov_b32 s26, 0
	s_mov_b64 s[92:93], 0
	s_waitcnt lgkmcnt(0)
	flat_load_dword v2, v[9:10] glc
	s_waitcnt vmcnt(0) lgkmcnt(0)
	buffer_wbinvl1_vol
	v_cmp_eq_u32_e64 s[16:17], 0, v2
	s_and_b64 s[16:17], s[16:17], exec
	s_or_b64 s[94:95], s[94:95], s[16:17]
	v_mov_b32_e32 v9, 1
	s_and_saveexec_b64 s[30:31], s[94:95]
	s_cbranch_execz .LBB0_35
.LBB0_41:                               ;   in Loop: Header=BB0_37 Depth=2
	s_waitcnt vmcnt(0) lgkmcnt(0)
	v_add_co_u32_e64 v9, s[16:17], 8, v52
	v_addc_co_u32_e64 v10, s[16:17], 0, v53, s[16:17]
	v_cmp_ge_u64_e64 s[16:17], v[9:10], v[17:18]
	v_mov_b32_e32 v9, 0
	s_or_b64 s[92:93], s[92:93], exec
	s_orn2_b64 s[90:91], s[16:17], exec
	s_branch .LBB0_35
.LBB0_42:                               ;   in Loop: Header=BB0_32 Depth=1
	s_or_b64 exec, exec, s[72:73]
	s_xor_b64 s[16:17], s[74:75], -1
	s_and_saveexec_b64 s[72:73], s[16:17]
	s_xor_b64 s[16:17], exec, s[72:73]
	s_cbranch_execz .LBB0_44
; %bb.43:                               ;   in Loop: Header=BB0_32 Depth=1
	v_mov_b32_e32 v9, 1
	s_waitcnt vmcnt(0) lgkmcnt(0)
	ds_write_b32 v0, v2
	s_trap 2
.LBB0_44:                               ;   in Loop: Header=BB0_32 Depth=1
	s_or_b64 exec, exec, s[16:17]
.LBB0_45:                               ;   in Loop: Header=BB0_32 Depth=1
	s_or_b64 exec, exec, s[62:63]
	s_and_saveexec_b64 s[16:17], s[8:9]
	s_cbranch_execz .LBB0_47
; %bb.46:                               ;   in Loop: Header=BB0_32 Depth=1
	v_and_b32_e32 v2, 0x7ffffff8, v15
	v_cmp_eq_u64_e32 vcc, s[44:45], v[2:3]
	buffer_load_dword v2, off, s[0:3], s32 offset:128 ; 4-byte Folded Reload
	v_and_b32_e32 v10, 7, v15
	v_mad_u64_u32 v[15:16], s[62:63], v10, 24, v[13:14]
	v_mov_b32_e32 v10, s21
	s_waitcnt vmcnt(0)
	v_cndmask_b32_e32 v19, v2, v10, vcc
	v_ashrrev_i32_e32 v20, 31, v19
	flat_store_dwordx2 v[15:16], v[19:20] offset:8
	s_waitcnt vmcnt(0)
.LBB0_47:                               ;   in Loop: Header=BB0_32 Depth=1
	s_or_b64 exec, exec, s[16:17]
	v_mov_b32_e32 v15, v17
	v_mov_b32_e32 v16, v18
.LBB0_48:                               ;   in Loop: Header=BB0_32 Depth=1
	s_or_b64 exec, exec, s[18:19]
	s_and_saveexec_b64 s[16:17], s[10:11]
	s_cbranch_execz .LBB0_67
; %bb.49:                               ;   in Loop: Header=BB0_32 Depth=1
	s_and_saveexec_b64 s[18:19], s[40:41]
	s_xor_b64 s[18:19], exec, s[18:19]
	s_cbranch_execz .LBB0_64
; %bb.50:                               ;   in Loop: Header=BB0_32 Depth=1
	s_and_saveexec_b64 s[62:63], s[12:13]
	s_cbranch_execz .LBB0_63
; %bb.51:                               ;   in Loop: Header=BB0_32 Depth=1
	s_mov_b64 s[74:75], exec
	v_mbcnt_lo_u32_b32 v2, s74, 0
	v_mbcnt_hi_u32_b32 v2, s75, v2
	v_cmp_eq_u32_e32 vcc, 0, v2
	s_waitcnt vmcnt(0) lgkmcnt(0)
	buffer_wbinvl1_vol
	s_and_saveexec_b64 s[72:73], vcc
	s_cbranch_execz .LBB0_53
; %bb.52:                               ;   in Loop: Header=BB0_32 Depth=1
	s_bcnt1_i32_b64 s26, s[74:75]
	v_mov_b32_e32 v2, s26
	ds_add_u64 v0, v[2:3]
	s_trap 2
.LBB0_53:                               ;   in Loop: Header=BB0_32 Depth=1
	s_or_b64 exec, exec, s[72:73]
	s_trap 2
	ds_read_b64 v[17:18], v0
	s_waitcnt lgkmcnt(0)
	buffer_load_dword v2, off, s[0:3], s32 offset:132 ; 4-byte Folded Reload
	s_waitcnt vmcnt(0)
	v_add_co_u32_e32 v40, vcc, v40, v2
	v_addc_co_u32_e32 v41, vcc, 0, v41, vcc
	v_cmp_lt_u64_e32 vcc, v[17:18], v[40:41]
	s_and_saveexec_b64 s[72:73], vcc
	s_cbranch_execz .LBB0_62
; %bb.54:                               ;   in Loop: Header=BB0_32 Depth=1
	s_mov_b32 s26, 0
	s_mov_b64 s[74:75], 0
                                        ; implicit-def: $sgpr76_sgpr77
                                        ; implicit-def: $sgpr78_sgpr79
	s_branch .LBB0_56
.LBB0_55:                               ;   in Loop: Header=BB0_56 Depth=2
	s_or_b64 exec, exec, s[90:91]
	s_and_b64 s[88:89], exec, s[92:93]
	s_or_b64 s[74:75], s[88:89], s[74:75]
	s_andn2_b64 s[76:77], s[76:77], exec
	s_and_b64 s[88:89], s[78:79], exec
	s_or_b64 s[76:77], s[76:77], s[88:89]
	s_andn2_b64 exec, exec, s[74:75]
	s_cbranch_execz .LBB0_60
.LBB0_56:                               ;   Parent Loop BB0_32 Depth=1
                                        ; =>  This Inner Loop Header: Depth=2
	s_add_i32 s26, s26, 1
	s_cmpk_lg_i32 s26, 0x2710
	s_cselect_b64 s[88:89], -1, 0
	s_and_b64 vcc, exec, s[88:89]
	s_cbranch_vccz .LBB0_58
; %bb.57:                               ;   in Loop: Header=BB0_56 Depth=2
	s_mov_b64 s[92:93], -1
	s_or_b64 s[78:79], s[78:79], exec
	s_and_saveexec_b64 s[90:91], s[88:89]
	s_cbranch_execz .LBB0_55
	s_branch .LBB0_59
.LBB0_58:                               ;   in Loop: Header=BB0_56 Depth=2
	s_trap 2
	ds_read_b64 v[17:18], v0
	s_andn2_b64 s[88:89], s[88:89], exec
	s_mov_b32 s26, 0
	s_waitcnt lgkmcnt(0)
	flat_load_dword v2, v[17:18] glc
	s_waitcnt vmcnt(0) lgkmcnt(0)
	buffer_wbinvl1_vol
	v_cmp_eq_u32_e32 vcc, 0, v2
	s_and_b64 s[90:91], vcc, exec
	s_or_b64 s[88:89], s[88:89], s[90:91]
	s_mov_b64 s[92:93], -1
	s_or_b64 s[78:79], s[78:79], exec
	s_and_saveexec_b64 s[90:91], s[88:89]
	s_cbranch_execz .LBB0_55
.LBB0_59:                               ;   in Loop: Header=BB0_56 Depth=2
	s_sleep 1
	s_trap 2
	ds_read_b64 v[17:18], v0
	s_waitcnt lgkmcnt(0)
	s_andn2_b64 s[78:79], s[78:79], exec
	v_cmp_ge_u64_e32 vcc, v[17:18], v[40:41]
	s_orn2_b64 s[92:93], vcc, exec
	s_branch .LBB0_55
.LBB0_60:                               ;   in Loop: Header=BB0_32 Depth=1
	s_or_b64 exec, exec, s[74:75]
	s_and_saveexec_b64 s[74:75], s[76:77]
	s_xor_b64 s[74:75], exec, s[74:75]
	s_cbranch_execz .LBB0_62
; %bb.61:                               ;   in Loop: Header=BB0_32 Depth=1
	v_mov_b32_e32 v2, 1
	ds_write_b32 v0, v2
	s_trap 2
.LBB0_62:                               ;   in Loop: Header=BB0_32 Depth=1
	s_or_b64 exec, exec, s[72:73]
	;;#ASMSTART
	s_wakeup
	;;#ASMEND
.LBB0_63:                               ;   in Loop: Header=BB0_32 Depth=1
	s_or_b64 exec, exec, s[62:63]
.LBB0_64:                               ;   in Loop: Header=BB0_32 Depth=1
	s_andn2_saveexec_b64 s[18:19], s[18:19]
	s_cbranch_execz .LBB0_66
; %bb.65:                               ;   in Loop: Header=BB0_32 Depth=1
	s_waitcnt vmcnt(0) lgkmcnt(0)
	buffer_wbinvl1_vol
	s_barrier
.LBB0_66:                               ;   in Loop: Header=BB0_32 Depth=1
	s_or_b64 exec, exec, s[18:19]
.LBB0_67:                               ;   in Loop: Header=BB0_32 Depth=1
	s_or_b64 exec, exec, s[16:17]
	buffer_load_dword v2, off, s[0:3], s32 offset:152 ; 4-byte Folded Reload
	buffer_load_dword v29, off, s[0:3], s32 offset:60 ; 4-byte Folded Reload
	;; [unrolled: 1-line block ×3, first 2 shown]
	v_and_b32_e32 v10, 7, v21
	v_add_u32_e32 v18, 1, v21
	s_waitcnt vmcnt(0)
	v_sub_u32_e32 v4, v4, v2
	v_cmp_lt_i32_e64 s[16:17], 0, v4
	s_and_saveexec_b64 s[62:63], s[16:17]
	s_cbranch_execz .LBB0_299
; %bb.68:                               ;   in Loop: Header=BB0_32 Depth=1
	buffer_load_dword v20, off, s[0:3], s32 offset:88 ; 4-byte Folded Reload
	buffer_load_dword v23, off, s[0:3], s32 offset:136 ; 4-byte Folded Reload
	;; [unrolled: 1-line block ×4, first 2 shown]
	s_waitcnt lgkmcnt(0)
	v_ashrrev_i32_e32 v2, 31, v0
	v_mul_lo_u32 v19, v10, s36
	s_mov_b64 s[72:73], 0
	v_mov_b32_e32 v30, v4
	s_waitcnt vmcnt(3)
	v_mul_lo_u32 v2, v20, v2
	s_waitcnt vmcnt(1)
	v_mad_u64_u32 v[46:47], s[18:19], v20, v0, v[23:24]
	s_waitcnt vmcnt(0)
	v_mul_lo_u32 v17, v17, v0
	v_mul_lo_u32 v0, v20, v0
	v_ashrrev_i32_e32 v20, 31, v19
	v_lshlrev_b64 v[19:20], 4, v[19:20]
	v_add3_u32 v47, v17, v47, v2
	v_add_lshl_u32 v26, v23, v0, 3
	buffer_load_dword v0, off, s[0:3], s32 offset:236 ; 4-byte Folded Reload
	s_waitcnt vmcnt(0)
	v_add_co_u32_e32 v56, vcc, v0, v19
	buffer_load_dword v0, off, s[0:3], s32 offset:240 ; 4-byte Folded Reload
	s_waitcnt vmcnt(0)
	v_addc_co_u32_e32 v57, vcc, v0, v20, vcc
	buffer_load_dword v19, off, s[0:3], s32 offset:60 ; 4-byte Folded Reload
	buffer_load_dword v20, off, s[0:3], s32 offset:64 ; 4-byte Folded Reload
	s_waitcnt vmcnt(1)
	v_mov_b32_e32 v29, v19
	s_branch .LBB0_71
.LBB0_69:                               ;   in Loop: Header=BB0_71 Depth=2
	s_or_b64 exec, exec, s[74:75]
.LBB0_70:                               ;   in Loop: Header=BB0_71 Depth=2
	s_or_b64 exec, exec, s[18:19]
	v_lshlrev_b32_e32 v0, 8, v23
	v_lshlrev_b32_e32 v2, 16, v24
	v_or3_b32 v0, v0, v17, v2
	v_lshlrev_b32_e32 v2, 24, v31
	v_lshlrev_b32_e32 v17, 8, v33
	v_lshlrev_b32_e32 v20, 16, v36
	v_or3_b32 v20, v17, v32, v20
	v_or3_b32 v17, v0, v2, 0
	buffer_load_dword v0, off, s[0:3], s32 offset:84 ; 4-byte Folded Reload
	v_add_co_u32_e32 v46, vcc, v46, v25
	v_lshlrev_b32_e32 v19, 24, v19
	v_sub_u32_e32 v30, v30, v25
	v_addc_co_u32_e32 v47, vcc, 0, v47, vcc
	v_or3_b32 v19, v20, v19, 0
	v_mov_b32_e32 v20, v18
	v_cmp_gt_i32_e32 vcc, 1, v30
	global_store_dwordx4 v[56:57], v[17:20], off
	s_or_b64 s[72:73], vcc, s[72:73]
	v_add_co_u32_e32 v56, vcc, v56, v5
	v_add_u32_e32 v29, v29, v1
	v_addc_co_u32_e32 v57, vcc, v57, v6, vcc
	s_waitcnt vmcnt(1)
	v_add_u32_e32 v26, v26, v0
	s_andn2_b64 exec, exec, s[72:73]
	s_cbranch_execz .LBB0_298
.LBB0_71:                               ;   Parent Loop BB0_32 Depth=1
                                        ; =>  This Inner Loop Header: Depth=2
	v_and_b32_e32 v19, -4, v46
	s_waitcnt vmcnt(0)
	v_mov_b32_e32 v20, v47
	global_load_dword v0, v[19:20], off glc slc
	v_min_u32_e32 v2, 8, v30
	v_and_b32_e32 v17, 3, v46
	v_add_u32_e32 v2, v17, v2
	v_cmp_lt_u32_e32 vcc, 4, v2
	v_mov_b32_e32 v32, 0
	v_mov_b32_e32 v33, 0
	s_and_saveexec_b64 s[18:19], vcc
	s_cbranch_execz .LBB0_73
; %bb.72:                               ;   in Loop: Header=BB0_71 Depth=2
	global_load_dword v33, v[19:20], off offset:4 glc slc
.LBB0_73:                               ;   in Loop: Header=BB0_71 Depth=2
	s_or_b64 exec, exec, s[18:19]
	v_cmp_lt_u64_e32 vcc, 8, v[2:3]
	s_and_saveexec_b64 s[18:19], vcc
	s_cbranch_execz .LBB0_75
; %bb.74:                               ;   in Loop: Header=BB0_71 Depth=2
	global_load_dword v32, v[19:20], off offset:8 glc slc
.LBB0_75:                               ;   in Loop: Header=BB0_71 Depth=2
	s_or_b64 exec, exec, s[18:19]
	s_waitcnt vmcnt(0)
	v_alignbit_b32 v2, v33, v0, v26
	v_cmp_ne_u16_sdwa s[74:75], v2, v3 src0_sel:BYTE_0 src1_sel:DWORD
	v_mov_b32_e32 v0, 0
	s_and_saveexec_b64 s[18:19], s[74:75]
	s_cbranch_execz .LBB0_83
; %bb.76:                               ;   in Loop: Header=BB0_71 Depth=2
	v_cmp_ne_u16_sdwa s[76:77], sext(v2), s38 src0_sel:BYTE_0 src1_sel:DWORD
	v_bfrev_b32_e32 v0, 1
	s_and_saveexec_b64 s[74:75], s[76:77]
	s_cbranch_execz .LBB0_82
; %bb.77:                               ;   in Loop: Header=BB0_71 Depth=2
	v_and_b32_e32 v0, 0x7c, v2
	v_and_b32_e32 v17, 3, v2
	v_cmp_ne_u32_e32 vcc, s39, v0
                                        ; implicit-def: $vgpr0
	s_and_saveexec_b64 s[76:77], vcc
	s_xor_b64 s[76:77], exec, s[76:77]
	s_cbranch_execz .LBB0_79
; %bb.78:                               ;   in Loop: Header=BB0_71 Depth=2
	v_ffbh_u32_e32 v19, v17
	v_min_u32_e32 v23, 32, v19
	v_subrev_u32_e32 v19, 29, v23
	v_lshlrev_b64 v[19:20], v19, v[2:3]
	v_bfe_u32 v0, v2, 2, 5
	v_and_b32_e32 v19, 3, v19
	v_cmp_eq_u32_e32 vcc, 0, v0
	v_sub_u32_e32 v20, 30, v23
	v_cndmask_b32_e32 v17, v17, v19, vcc
	v_lshlrev_b32_e32 v19, 24, v2
	v_cndmask_b32_e32 v0, v0, v20, vcc
	v_and_b32_e32 v19, 0x80000000, v19
	v_lshl_add_u32 v0, v0, 23, v19
	v_lshl_or_b32 v0, v17, 21, v0
	v_add_u32_e32 v0, 0x38000000, v0
                                        ; implicit-def: $vgpr17
.LBB0_79:                               ;   in Loop: Header=BB0_71 Depth=2
	s_andn2_saveexec_b64 s[76:77], s[76:77]
; %bb.80:                               ;   in Loop: Header=BB0_71 Depth=2
	v_cmp_gt_i16_sdwa vcc, sext(v2), v7 src0_sel:BYTE_0 src1_sel:DWORD
	v_cndmask_b32_e32 v0, v8, v54, vcc
	v_cmp_eq_u32_e32 vcc, 0, v17
	v_cndmask_b32_e32 v0, v55, v0, vcc
; %bb.81:                               ;   in Loop: Header=BB0_71 Depth=2
	s_or_b64 exec, exec, s[76:77]
.LBB0_82:                               ;   in Loop: Header=BB0_71 Depth=2
	s_or_b64 exec, exec, s[74:75]
.LBB0_83:                               ;   in Loop: Header=BB0_71 Depth=2
	s_or_b64 exec, exec, s[18:19]
	v_mul_f32_e32 v23, v62, v0
	v_and_b32_e32 v27, 0x7f800000, v23
	v_mov_b32_e32 v28, v3
	v_cmp_ne_u64_e32 vcc, s[56:57], v[27:28]
	v_and_b32_e32 v19, 0x7fffff, v23
	v_mov_b32_e32 v20, v3
                                        ; implicit-def: $vgpr17
	s_and_saveexec_b64 s[18:19], vcc
	s_xor_b64 s[74:75], exec, s[18:19]
	s_cbranch_execz .LBB0_97
; %bb.84:                               ;   in Loop: Header=BB0_71 Depth=2
	v_and_b32_e32 v27, 0x7fffffff, v23
	v_mov_b32_e32 v28, v3
	v_cmp_gt_u64_e32 vcc, s[58:59], v[27:28]
	v_and_b32_sdwa v0, v23, s48 dst_sel:DWORD dst_unused:UNUSED_PAD src0_sel:BYTE_3 src1_sel:DWORD
                                        ; implicit-def: $vgpr17
	s_and_saveexec_b64 s[18:19], vcc
	s_xor_b64 s[76:77], exec, s[18:19]
	s_cbranch_execz .LBB0_94
; %bb.85:                               ;   in Loop: Header=BB0_71 Depth=2
	v_mov_b32_e32 v17, 0
	v_cmp_ne_u32_e32 vcc, 0, v23
	s_and_saveexec_b64 s[78:79], vcc
	s_cbranch_execz .LBB0_93
; %bb.86:                               ;   in Loop: Header=BB0_71 Depth=2
	v_bfe_u32 v17, v23, 23, 8
	v_cmp_gt_u32_e64 s[18:19], s49, v17
	v_sub_u32_e32 v23, 0x71, v17
	v_cmp_eq_u32_e32 vcc, 0, v17
	v_cndmask_b32_e64 v23, 0, v23, s[18:19]
	v_or_b32_e32 v24, 0x800000, v19
	v_cndmask_b32_e32 v23, v23, v12, vcc
	v_cndmask_b32_e32 v19, v24, v19, vcc
	v_add_u32_e32 v24, 21, v23
	v_lshlrev_b64 v[27:28], v24, -1
	v_add_u32_e32 v24, 20, v23
	v_bfi_b32 v27, v27, 0, v19
	v_lshlrev_b64 v[36:37], v24, 1
	v_lshrrev_b64 v[19:20], v23, v[19:20]
	v_bfi_b32 v28, v28, 0, 0
	v_cmp_eq_u64_e64 s[18:19], v[27:28], v[36:37]
	v_mov_b32_e32 v28, v20
	v_mov_b32_e32 v27, v19
	s_and_saveexec_b64 s[88:89], s[18:19]
; %bb.87:                               ;   in Loop: Header=BB0_71 Depth=2
	v_bfe_u32 v20, v19, 21, 1
	v_add_co_u32_e64 v20, s[18:19], v19, v20
	v_add_co_u32_e64 v27, s[18:19], -1, v20
; %bb.88:                               ;   in Loop: Header=BB0_71 Depth=2
	s_or_b64 exec, exec, s[88:89]
	v_add_u32_e32 v17, 0xffffff81, v17
	v_cndmask_b32_e32 v17, v17, v48, vcc
	v_lshrrev_b32_e32 v20, 23, v19
	v_add3_u32 v24, v23, v17, v20
	v_add_u32_e32 v23, 14, v24
	v_and_b32_e32 v17, 0x1fffff, v27
	v_add_u32_e32 v19, v17, v19
	v_mov_b32_e32 v20, v3
	v_cmp_ne_u32_e32 vcc, 0, v23
                                        ; implicit-def: $vgpr17
	s_and_saveexec_b64 s[18:19], vcc
	s_xor_b64 s[18:19], exec, s[18:19]
; %bb.89:                               ;   in Loop: Header=BB0_71 Depth=2
	v_cmp_lt_u64_e32 vcc, s[60:61], v[19:20]
	v_add_u32_e32 v17, 15, v24
	v_cndmask_b32_e32 v17, v23, v17, vcc
	v_cndmask_b32_e64 v23, 0, 1, vcc
	v_lshrrev_b64 v[19:20], v23, v[19:20]
; %bb.90:                               ;   in Loop: Header=BB0_71 Depth=2
	s_andn2_saveexec_b64 s[18:19], s[18:19]
; %bb.91:                               ;   in Loop: Header=BB0_71 Depth=2
	v_bfe_u32 v17, v19, 23, 1
; %bb.92:                               ;   in Loop: Header=BB0_71 Depth=2
	s_or_b64 exec, exec, s[18:19]
	v_lshrrev_b64 v[19:20], 21, v[19:20]
	v_cmp_gt_i32_e32 vcc, 32, v17
	v_cndmask_b32_e32 v20, 0, v20, vcc
	v_cndmask_b32_e32 v19, 3, v19, vcc
	v_cmp_eq_u32_e32 vcc, 0, v17
	v_min_i32_e32 v17, 31, v17
	v_cmp_eq_u64_e64 s[18:19], 0, v[19:20]
	v_lshlrev_b32_e32 v17, 2, v17
	v_and_b32_e32 v17, 0xfc, v17
	v_and_or_b32 v17, v19, 3, v17
	s_and_b64 s[18:19], vcc, s[18:19]
	v_cndmask_b32_e64 v17, v17, 0, s[18:19]
	v_or_b32_e32 v17, v17, v0
.LBB0_93:                               ;   in Loop: Header=BB0_71 Depth=2
	s_or_b64 exec, exec, s[78:79]
                                        ; implicit-def: $vgpr0
.LBB0_94:                               ;   in Loop: Header=BB0_71 Depth=2
	s_andn2_saveexec_b64 s[18:19], s[76:77]
; %bb.95:                               ;   in Loop: Header=BB0_71 Depth=2
	v_or_b32_e32 v17, 0x7b, v0
; %bb.96:                               ;   in Loop: Header=BB0_71 Depth=2
	s_or_b64 exec, exec, s[18:19]
                                        ; implicit-def: $vgpr23
                                        ; implicit-def: $vgpr19_vgpr20
.LBB0_97:                               ;   in Loop: Header=BB0_71 Depth=2
	s_andn2_saveexec_b64 s[18:19], s[74:75]
	s_cbranch_execz .LBB0_103
; %bb.98:                               ;   in Loop: Header=BB0_71 Depth=2
	v_cmp_ne_u64_e32 vcc, 0, v[19:20]
                                        ; implicit-def: $vgpr17
	s_and_saveexec_b64 s[74:75], vcc
	s_xor_b64 s[74:75], exec, s[74:75]
; %bb.99:                               ;   in Loop: Header=BB0_71 Depth=2
	v_or_b32_sdwa v17, v23, s50 dst_sel:DWORD dst_unused:UNUSED_PAD src0_sel:BYTE_3 src1_sel:DWORD
                                        ; implicit-def: $vgpr23
; %bb.100:                              ;   in Loop: Header=BB0_71 Depth=2
	s_andn2_saveexec_b64 s[74:75], s[74:75]
; %bb.101:                              ;   in Loop: Header=BB0_71 Depth=2
	v_cmp_lt_i32_e32 vcc, -1, v23
	v_cndmask_b32_e32 v17, v49, v11, vcc
; %bb.102:                              ;   in Loop: Header=BB0_71 Depth=2
	s_or_b64 exec, exec, s[74:75]
.LBB0_103:                              ;   in Loop: Header=BB0_71 Depth=2
	s_or_b64 exec, exec, s[18:19]
	v_lshrrev_b16_e32 v19, 8, v2
	v_cmp_ne_u16_e32 vcc, 0, v19
	v_mov_b32_e32 v0, 0
	s_and_saveexec_b64 s[18:19], vcc
	s_cbranch_execz .LBB0_111
; %bb.104:                              ;   in Loop: Header=BB0_71 Depth=2
	v_cmp_ne_u16_e32 vcc, s48, v19
	v_bfrev_b32_e32 v0, 1
	s_and_saveexec_b64 s[74:75], vcc
	s_cbranch_execz .LBB0_110
; %bb.105:                              ;   in Loop: Header=BB0_71 Depth=2
	v_and_b32_e32 v0, 0x7c, v19
	v_and_b32_e32 v23, 3, v19
	v_cmp_ne_u32_e32 vcc, s39, v0
                                        ; implicit-def: $vgpr0
	s_and_saveexec_b64 s[76:77], vcc
	s_xor_b64 s[76:77], exec, s[76:77]
	s_cbranch_execz .LBB0_107
; %bb.106:                              ;   in Loop: Header=BB0_71 Depth=2
	v_ffbh_u32_e32 v24, v23
	v_min_u32_e32 v24, 32, v24
	v_mov_b32_e32 v20, v3
	v_subrev_u32_e32 v27, 29, v24
	v_bfe_u32 v0, v19, 2, 5
	v_lshlrev_b64 v[19:20], v27, v[19:20]
	v_sub_u32_e32 v20, 30, v24
	v_cmp_eq_u32_e32 vcc, 0, v0
	v_cndmask_b32_e32 v0, v0, v20, vcc
	v_lshlrev_b32_e32 v20, 16, v2
	v_and_b32_e32 v19, 3, v19
	v_and_b32_e32 v20, 0x80000000, v20
	v_cndmask_b32_e32 v19, v23, v19, vcc
	v_lshl_add_u32 v0, v0, 23, v20
	v_lshl_or_b32 v0, v19, 21, v0
	v_add_u32_e32 v0, 0x38000000, v0
                                        ; implicit-def: $vgpr23
.LBB0_107:                              ;   in Loop: Header=BB0_71 Depth=2
	s_andn2_saveexec_b64 s[76:77], s[76:77]
; %bb.108:                              ;   in Loop: Header=BB0_71 Depth=2
	v_cmp_lt_i16_e32 vcc, -1, v2
	v_cndmask_b32_e32 v0, v8, v54, vcc
	v_cmp_eq_u32_e32 vcc, 0, v23
	v_cndmask_b32_e32 v0, v55, v0, vcc
; %bb.109:                              ;   in Loop: Header=BB0_71 Depth=2
	s_or_b64 exec, exec, s[76:77]
.LBB0_110:                              ;   in Loop: Header=BB0_71 Depth=2
	s_or_b64 exec, exec, s[74:75]
.LBB0_111:                              ;   in Loop: Header=BB0_71 Depth=2
	s_or_b64 exec, exec, s[18:19]
	v_mul_f32_e32 v24, v62, v0
	v_and_b32_e32 v27, 0x7f800000, v24
	v_mov_b32_e32 v28, v3
	v_cmp_ne_u64_e32 vcc, s[56:57], v[27:28]
	v_and_b32_e32 v19, 0x7fffff, v24
	v_mov_b32_e32 v20, v3
                                        ; implicit-def: $vgpr23
	s_and_saveexec_b64 s[18:19], vcc
	s_xor_b64 s[74:75], exec, s[18:19]
	s_cbranch_execz .LBB0_125
; %bb.112:                              ;   in Loop: Header=BB0_71 Depth=2
	v_and_b32_e32 v27, 0x7fffffff, v24
	v_mov_b32_e32 v28, v3
	v_cmp_gt_u64_e32 vcc, s[58:59], v[27:28]
	v_and_b32_sdwa v0, v24, s48 dst_sel:DWORD dst_unused:UNUSED_PAD src0_sel:BYTE_3 src1_sel:DWORD
                                        ; implicit-def: $vgpr23
	s_and_saveexec_b64 s[18:19], vcc
	s_xor_b64 s[76:77], exec, s[18:19]
	s_cbranch_execz .LBB0_122
; %bb.113:                              ;   in Loop: Header=BB0_71 Depth=2
	v_mov_b32_e32 v23, 0
	v_cmp_ne_u32_e32 vcc, 0, v24
	s_and_saveexec_b64 s[78:79], vcc
	s_cbranch_execz .LBB0_121
; %bb.114:                              ;   in Loop: Header=BB0_71 Depth=2
	v_bfe_u32 v23, v24, 23, 8
	v_cmp_gt_u32_e64 s[18:19], s49, v23
	v_sub_u32_e32 v24, 0x71, v23
	v_cmp_eq_u32_e32 vcc, 0, v23
	v_cndmask_b32_e64 v24, 0, v24, s[18:19]
	v_or_b32_e32 v27, 0x800000, v19
	v_cndmask_b32_e32 v24, v24, v12, vcc
	v_cndmask_b32_e32 v19, v27, v19, vcc
	v_add_u32_e32 v27, 21, v24
	v_lshlrev_b64 v[27:28], v27, -1
	v_add_u32_e32 v31, 20, v24
	v_bfi_b32 v27, v27, 0, v19
	v_lshlrev_b64 v[36:37], v31, 1
	v_lshrrev_b64 v[19:20], v24, v[19:20]
	v_bfi_b32 v28, v28, 0, 0
	v_cmp_eq_u64_e64 s[18:19], v[27:28], v[36:37]
	v_mov_b32_e32 v28, v20
	v_mov_b32_e32 v27, v19
	s_and_saveexec_b64 s[88:89], s[18:19]
; %bb.115:                              ;   in Loop: Header=BB0_71 Depth=2
	v_bfe_u32 v20, v19, 21, 1
	v_add_co_u32_e64 v20, s[18:19], v19, v20
	v_add_co_u32_e64 v27, s[18:19], -1, v20
; %bb.116:                              ;   in Loop: Header=BB0_71 Depth=2
	s_or_b64 exec, exec, s[88:89]
	v_add_u32_e32 v20, 0xffffff81, v23
	v_cndmask_b32_e32 v20, v20, v48, vcc
	v_lshrrev_b32_e32 v23, 23, v19
	v_add3_u32 v28, v24, v20, v23
	v_add_u32_e32 v24, 14, v28
	v_and_b32_e32 v20, 0x1fffff, v27
	v_add_u32_e32 v19, v20, v19
	v_mov_b32_e32 v20, v3
	v_cmp_ne_u32_e32 vcc, 0, v24
                                        ; implicit-def: $vgpr23
	s_and_saveexec_b64 s[18:19], vcc
	s_xor_b64 s[18:19], exec, s[18:19]
; %bb.117:                              ;   in Loop: Header=BB0_71 Depth=2
	v_cmp_lt_u64_e32 vcc, s[60:61], v[19:20]
	v_add_u32_e32 v23, 15, v28
	v_cndmask_b32_e32 v23, v24, v23, vcc
	v_cndmask_b32_e64 v24, 0, 1, vcc
	v_lshrrev_b64 v[19:20], v24, v[19:20]
; %bb.118:                              ;   in Loop: Header=BB0_71 Depth=2
	s_andn2_saveexec_b64 s[18:19], s[18:19]
; %bb.119:                              ;   in Loop: Header=BB0_71 Depth=2
	v_bfe_u32 v23, v19, 23, 1
; %bb.120:                              ;   in Loop: Header=BB0_71 Depth=2
	s_or_b64 exec, exec, s[18:19]
	v_lshrrev_b64 v[19:20], 21, v[19:20]
	v_cmp_gt_i32_e32 vcc, 32, v23
	v_cndmask_b32_e32 v20, 0, v20, vcc
	v_cndmask_b32_e32 v19, 3, v19, vcc
	v_cmp_eq_u64_e64 s[18:19], 0, v[19:20]
	v_min_i32_e32 v20, 31, v23
	v_lshlrev_b32_e32 v20, 2, v20
	v_cmp_eq_u32_e32 vcc, 0, v23
	v_and_b32_e32 v20, 0xfc, v20
	v_and_or_b32 v19, v19, 3, v20
	s_and_b64 s[18:19], vcc, s[18:19]
	v_cndmask_b32_e64 v19, v19, 0, s[18:19]
	v_or_b32_e32 v23, v19, v0
.LBB0_121:                              ;   in Loop: Header=BB0_71 Depth=2
	s_or_b64 exec, exec, s[78:79]
                                        ; implicit-def: $vgpr0
.LBB0_122:                              ;   in Loop: Header=BB0_71 Depth=2
	s_andn2_saveexec_b64 s[18:19], s[76:77]
; %bb.123:                              ;   in Loop: Header=BB0_71 Depth=2
	v_or_b32_e32 v23, 0x7b, v0
; %bb.124:                              ;   in Loop: Header=BB0_71 Depth=2
	s_or_b64 exec, exec, s[18:19]
                                        ; implicit-def: $vgpr24
                                        ; implicit-def: $vgpr19_vgpr20
.LBB0_125:                              ;   in Loop: Header=BB0_71 Depth=2
	s_andn2_saveexec_b64 s[18:19], s[74:75]
	s_cbranch_execz .LBB0_131
; %bb.126:                              ;   in Loop: Header=BB0_71 Depth=2
	v_cmp_ne_u64_e32 vcc, 0, v[19:20]
                                        ; implicit-def: $vgpr23
	s_and_saveexec_b64 s[74:75], vcc
	s_xor_b64 s[74:75], exec, s[74:75]
; %bb.127:                              ;   in Loop: Header=BB0_71 Depth=2
	v_or_b32_sdwa v23, v24, s50 dst_sel:DWORD dst_unused:UNUSED_PAD src0_sel:BYTE_3 src1_sel:DWORD
                                        ; implicit-def: $vgpr24
; %bb.128:                              ;   in Loop: Header=BB0_71 Depth=2
	s_andn2_saveexec_b64 s[74:75], s[74:75]
; %bb.129:                              ;   in Loop: Header=BB0_71 Depth=2
	v_cmp_lt_i32_e32 vcc, -1, v24
	v_cndmask_b32_e32 v23, v49, v11, vcc
; %bb.130:                              ;   in Loop: Header=BB0_71 Depth=2
	s_or_b64 exec, exec, s[74:75]
.LBB0_131:                              ;   in Loop: Header=BB0_71 Depth=2
	s_or_b64 exec, exec, s[18:19]
	v_and_b32_sdwa v20, v2, s37 dst_sel:DWORD dst_unused:UNUSED_PAD src0_sel:WORD_1 src1_sel:DWORD
	v_lshrrev_b32_e32 v19, 16, v2
	v_cmp_ne_u16_e32 vcc, 0, v20
	v_mov_b32_e32 v0, 0
	s_and_saveexec_b64 s[18:19], vcc
	s_cbranch_execz .LBB0_139
; %bb.132:                              ;   in Loop: Header=BB0_71 Depth=2
	v_cmp_ne_u16_e32 vcc, s48, v20
	v_bfrev_b32_e32 v0, 1
	s_and_saveexec_b64 s[74:75], vcc
	s_cbranch_execz .LBB0_138
; %bb.133:                              ;   in Loop: Header=BB0_71 Depth=2
	v_and_b32_e32 v0, 0x7c0000, v2
	v_bfe_u32 v20, v2, 16, 2
	v_cmp_ne_u32_e32 vcc, s51, v0
                                        ; implicit-def: $vgpr0
	s_and_saveexec_b64 s[76:77], vcc
	s_xor_b64 s[76:77], exec, s[76:77]
	s_cbranch_execz .LBB0_135
; %bb.134:                              ;   in Loop: Header=BB0_71 Depth=2
	v_ffbh_u32_e32 v24, v20
	v_min_u32_e32 v24, 32, v24
	v_lshrrev_b32_e32 v0, 16, v2
	v_subrev_u32_e32 v27, 29, v24
	v_lshlrev_b64 v[27:28], v27, v[0:1]
	v_bfe_u32 v19, v2, 18, 5
	v_sub_u32_e32 v0, 30, v24
	v_and_b32_e32 v24, 3, v27
	v_cmp_eq_u32_e32 vcc, 0, v19
	v_cndmask_b32_e32 v0, v19, v0, vcc
	v_cndmask_b32_e32 v19, v20, v24, vcc
	v_lshlrev_b32_e32 v20, 8, v2
	v_and_b32_e32 v20, 0x80000000, v20
	v_lshl_add_u32 v0, v0, 23, v20
	v_lshl_or_b32 v0, v19, 21, v0
	v_add_u32_e32 v0, 0x38000000, v0
                                        ; implicit-def: $vgpr20
                                        ; implicit-def: $vgpr19
.LBB0_135:                              ;   in Loop: Header=BB0_71 Depth=2
	s_andn2_saveexec_b64 s[76:77], s[76:77]
; %bb.136:                              ;   in Loop: Header=BB0_71 Depth=2
	v_cmp_gt_i16_sdwa vcc, sext(v19), v7 src0_sel:BYTE_0 src1_sel:DWORD
	v_cndmask_b32_e32 v0, v8, v54, vcc
	v_cmp_eq_u32_e32 vcc, 0, v20
	v_cndmask_b32_e32 v0, v55, v0, vcc
; %bb.137:                              ;   in Loop: Header=BB0_71 Depth=2
	s_or_b64 exec, exec, s[76:77]
.LBB0_138:                              ;   in Loop: Header=BB0_71 Depth=2
	s_or_b64 exec, exec, s[74:75]
.LBB0_139:                              ;   in Loop: Header=BB0_71 Depth=2
	s_or_b64 exec, exec, s[18:19]
	v_mul_f32_e32 v27, v62, v0
	v_and_b32_e32 v36, 0x7f800000, v27
	v_mov_b32_e32 v37, v3
	v_cmp_ne_u64_e32 vcc, s[56:57], v[36:37]
	v_and_b32_e32 v19, 0x7fffff, v27
	v_mov_b32_e32 v20, v3
                                        ; implicit-def: $vgpr24
	s_and_saveexec_b64 s[18:19], vcc
	s_xor_b64 s[74:75], exec, s[18:19]
	s_cbranch_execz .LBB0_153
; %bb.140:                              ;   in Loop: Header=BB0_71 Depth=2
	v_and_b32_e32 v36, 0x7fffffff, v27
	v_mov_b32_e32 v37, v3
	v_cmp_gt_u64_e32 vcc, s[58:59], v[36:37]
	v_and_b32_sdwa v0, v27, s48 dst_sel:DWORD dst_unused:UNUSED_PAD src0_sel:BYTE_3 src1_sel:DWORD
                                        ; implicit-def: $vgpr24
	s_and_saveexec_b64 s[18:19], vcc
	s_xor_b64 s[76:77], exec, s[18:19]
	s_cbranch_execz .LBB0_150
; %bb.141:                              ;   in Loop: Header=BB0_71 Depth=2
	v_mov_b32_e32 v24, 0
	v_cmp_ne_u32_e32 vcc, 0, v27
	s_and_saveexec_b64 s[78:79], vcc
	s_cbranch_execz .LBB0_149
; %bb.142:                              ;   in Loop: Header=BB0_71 Depth=2
	v_bfe_u32 v24, v27, 23, 8
	v_cmp_gt_u32_e64 s[18:19], s49, v24
	v_sub_u32_e32 v27, 0x71, v24
	v_cmp_eq_u32_e32 vcc, 0, v24
	v_cndmask_b32_e64 v27, 0, v27, s[18:19]
	v_cndmask_b32_e32 v31, v27, v12, vcc
	v_or_b32_e32 v28, 0x800000, v19
	v_add_u32_e32 v27, 21, v31
	v_cndmask_b32_e32 v19, v28, v19, vcc
	v_lshlrev_b64 v[27:28], v27, -1
	v_add_u32_e32 v36, 20, v31
	v_bfi_b32 v27, v27, 0, v19
	v_lshlrev_b64 v[36:37], v36, 1
	v_lshrrev_b64 v[19:20], v31, v[19:20]
	v_bfi_b32 v28, v28, 0, 0
	v_cmp_eq_u64_e64 s[18:19], v[27:28], v[36:37]
	v_mov_b32_e32 v28, v20
	v_mov_b32_e32 v27, v19
	s_and_saveexec_b64 s[88:89], s[18:19]
; %bb.143:                              ;   in Loop: Header=BB0_71 Depth=2
	v_bfe_u32 v20, v19, 21, 1
	v_add_co_u32_e64 v20, s[18:19], v19, v20
	v_add_co_u32_e64 v27, s[18:19], -1, v20
; %bb.144:                              ;   in Loop: Header=BB0_71 Depth=2
	s_or_b64 exec, exec, s[88:89]
	v_add_u32_e32 v20, 0xffffff81, v24
	v_cndmask_b32_e32 v20, v20, v48, vcc
	v_lshrrev_b32_e32 v24, 23, v19
	v_add3_u32 v31, v31, v20, v24
	v_add_u32_e32 v28, 14, v31
	v_and_b32_e32 v20, 0x1fffff, v27
	v_add_u32_e32 v19, v20, v19
	v_mov_b32_e32 v20, v3
	v_cmp_ne_u32_e32 vcc, 0, v28
                                        ; implicit-def: $vgpr24
	s_and_saveexec_b64 s[18:19], vcc
	s_xor_b64 s[18:19], exec, s[18:19]
; %bb.145:                              ;   in Loop: Header=BB0_71 Depth=2
	v_cmp_lt_u64_e32 vcc, s[60:61], v[19:20]
	v_add_u32_e32 v24, 15, v31
	v_cndmask_b32_e64 v27, 0, 1, vcc
	v_cndmask_b32_e32 v24, v28, v24, vcc
	v_lshrrev_b64 v[19:20], v27, v[19:20]
; %bb.146:                              ;   in Loop: Header=BB0_71 Depth=2
	s_andn2_saveexec_b64 s[18:19], s[18:19]
; %bb.147:                              ;   in Loop: Header=BB0_71 Depth=2
	v_bfe_u32 v24, v19, 23, 1
; %bb.148:                              ;   in Loop: Header=BB0_71 Depth=2
	s_or_b64 exec, exec, s[18:19]
	v_lshrrev_b64 v[19:20], 21, v[19:20]
	v_cmp_gt_i32_e32 vcc, 32, v24
	v_cndmask_b32_e32 v20, 0, v20, vcc
	v_cndmask_b32_e32 v19, 3, v19, vcc
	v_cmp_eq_u64_e64 s[18:19], 0, v[19:20]
	v_min_i32_e32 v20, 31, v24
	v_lshlrev_b32_e32 v20, 2, v20
	v_cmp_eq_u32_e32 vcc, 0, v24
	v_and_b32_e32 v20, 0xfc, v20
	v_and_or_b32 v19, v19, 3, v20
	s_and_b64 s[18:19], vcc, s[18:19]
	v_cndmask_b32_e64 v19, v19, 0, s[18:19]
	v_or_b32_e32 v24, v19, v0
.LBB0_149:                              ;   in Loop: Header=BB0_71 Depth=2
	s_or_b64 exec, exec, s[78:79]
                                        ; implicit-def: $vgpr0
.LBB0_150:                              ;   in Loop: Header=BB0_71 Depth=2
	s_andn2_saveexec_b64 s[18:19], s[76:77]
; %bb.151:                              ;   in Loop: Header=BB0_71 Depth=2
	v_or_b32_e32 v24, 0x7b, v0
; %bb.152:                              ;   in Loop: Header=BB0_71 Depth=2
	s_or_b64 exec, exec, s[18:19]
                                        ; implicit-def: $vgpr27
                                        ; implicit-def: $vgpr19_vgpr20
.LBB0_153:                              ;   in Loop: Header=BB0_71 Depth=2
	s_andn2_saveexec_b64 s[18:19], s[74:75]
	s_cbranch_execz .LBB0_159
; %bb.154:                              ;   in Loop: Header=BB0_71 Depth=2
	v_cmp_ne_u64_e32 vcc, 0, v[19:20]
                                        ; implicit-def: $vgpr24
	s_and_saveexec_b64 s[74:75], vcc
	s_xor_b64 s[74:75], exec, s[74:75]
; %bb.155:                              ;   in Loop: Header=BB0_71 Depth=2
	v_or_b32_sdwa v24, v27, s50 dst_sel:DWORD dst_unused:UNUSED_PAD src0_sel:BYTE_3 src1_sel:DWORD
                                        ; implicit-def: $vgpr27
; %bb.156:                              ;   in Loop: Header=BB0_71 Depth=2
	s_andn2_saveexec_b64 s[74:75], s[74:75]
; %bb.157:                              ;   in Loop: Header=BB0_71 Depth=2
	v_cmp_lt_i32_e32 vcc, -1, v27
	v_cndmask_b32_e32 v24, v49, v11, vcc
; %bb.158:                              ;   in Loop: Header=BB0_71 Depth=2
	s_or_b64 exec, exec, s[74:75]
.LBB0_159:                              ;   in Loop: Header=BB0_71 Depth=2
	s_or_b64 exec, exec, s[18:19]
	v_cmp_lt_u32_e32 vcc, s47, v2
	v_mov_b32_e32 v19, 0
	s_and_saveexec_b64 s[18:19], vcc
	s_cbranch_execz .LBB0_167
; %bb.160:                              ;   in Loop: Header=BB0_71 Depth=2
	v_lshrrev_b32_e32 v0, 24, v2
	v_cmp_ne_u32_e32 vcc, s48, v0
	v_bfrev_b32_e32 v19, 1
	s_and_saveexec_b64 s[74:75], vcc
	s_cbranch_execz .LBB0_166
; %bb.161:                              ;   in Loop: Header=BB0_71 Depth=2
	v_and_b32_e32 v19, 0x7c000000, v2
	v_bfe_u32 v20, v2, 24, 2
	v_cmp_ne_u32_e32 vcc, s52, v19
                                        ; implicit-def: $vgpr19
	s_and_saveexec_b64 s[76:77], vcc
	s_xor_b64 s[76:77], exec, s[76:77]
	s_cbranch_execz .LBB0_163
; %bb.162:                              ;   in Loop: Header=BB0_71 Depth=2
	v_ffbh_u32_e32 v27, v20
	v_min_u32_e32 v31, 32, v27
	v_subrev_u32_e32 v27, 29, v31
	v_bfe_u32 v19, v2, 26, 5
	v_lshlrev_b64 v[27:28], v27, v[0:1]
	v_sub_u32_e32 v0, 30, v31
	v_cmp_eq_u32_e32 vcc, 0, v19
	v_and_b32_e32 v27, 3, v27
	v_cndmask_b32_e32 v0, v19, v0, vcc
	v_and_b32_e32 v2, 0x80000000, v2
	v_cndmask_b32_e32 v19, v20, v27, vcc
	v_lshl_add_u32 v0, v0, 23, v2
	v_lshl_or_b32 v0, v19, 21, v0
	v_add_u32_e32 v19, 0x38000000, v0
                                        ; implicit-def: $vgpr20
.LBB0_163:                              ;   in Loop: Header=BB0_71 Depth=2
	s_andn2_saveexec_b64 s[76:77], s[76:77]
; %bb.164:                              ;   in Loop: Header=BB0_71 Depth=2
	v_cmp_lt_i32_e32 vcc, -1, v2
	v_cndmask_b32_e32 v0, v8, v54, vcc
	v_cmp_eq_u32_e32 vcc, 0, v20
	v_cndmask_b32_e32 v19, v55, v0, vcc
; %bb.165:                              ;   in Loop: Header=BB0_71 Depth=2
	s_or_b64 exec, exec, s[76:77]
.LBB0_166:                              ;   in Loop: Header=BB0_71 Depth=2
	s_or_b64 exec, exec, s[74:75]
.LBB0_167:                              ;   in Loop: Header=BB0_71 Depth=2
	s_or_b64 exec, exec, s[18:19]
	v_mul_f32_e32 v19, v62, v19
	v_and_b32_e32 v27, 0x7f800000, v19
	v_mov_b32_e32 v28, v3
	v_cmp_ne_u64_e32 vcc, s[56:57], v[27:28]
	v_and_b32_e32 v2, 0x7fffff, v19
                                        ; implicit-def: $vgpr31
	s_and_saveexec_b64 s[18:19], vcc
	s_xor_b64 s[74:75], exec, s[18:19]
	s_cbranch_execz .LBB0_181
; %bb.168:                              ;   in Loop: Header=BB0_71 Depth=2
	v_and_b32_e32 v27, 0x7fffffff, v19
	v_mov_b32_e32 v28, v3
	v_cmp_gt_u64_e32 vcc, s[58:59], v[27:28]
	v_and_b32_sdwa v0, v19, s48 dst_sel:DWORD dst_unused:UNUSED_PAD src0_sel:BYTE_3 src1_sel:DWORD
                                        ; implicit-def: $vgpr31
	s_and_saveexec_b64 s[18:19], vcc
	s_xor_b64 s[76:77], exec, s[18:19]
	s_cbranch_execz .LBB0_178
; %bb.169:                              ;   in Loop: Header=BB0_71 Depth=2
	v_mov_b32_e32 v31, 0
	v_cmp_ne_u32_e32 vcc, 0, v19
	s_and_saveexec_b64 s[78:79], vcc
	s_cbranch_execz .LBB0_177
; %bb.170:                              ;   in Loop: Header=BB0_71 Depth=2
	v_bfe_u32 v31, v19, 23, 8
	v_cmp_gt_u32_e64 s[18:19], s49, v31
	v_sub_u32_e32 v19, 0x71, v31
	v_cmp_eq_u32_e32 vcc, 0, v31
	v_cndmask_b32_e64 v19, 0, v19, s[18:19]
	v_cndmask_b32_e32 v36, v19, v12, vcc
	v_or_b32_e32 v20, 0x800000, v2
	v_add_u32_e32 v19, 21, v36
	v_cndmask_b32_e32 v2, v20, v2, vcc
	v_lshlrev_b64 v[19:20], v19, -1
	v_add_u32_e32 v27, 20, v36
	v_lshlrev_b64 v[27:28], v27, 1
	v_bfi_b32 v20, v20, 0, 0
	v_bfi_b32 v19, v19, 0, v2
	v_cmp_eq_u64_e64 s[18:19], v[19:20], v[27:28]
	v_lshrrev_b64 v[19:20], v36, v[2:3]
	v_mov_b32_e32 v28, v20
	v_mov_b32_e32 v27, v19
	s_and_saveexec_b64 s[88:89], s[18:19]
; %bb.171:                              ;   in Loop: Header=BB0_71 Depth=2
	v_bfe_u32 v2, v19, 21, 1
	v_add_co_u32_e64 v2, s[18:19], v19, v2
	v_add_co_u32_e64 v27, s[18:19], -1, v2
; %bb.172:                              ;   in Loop: Header=BB0_71 Depth=2
	s_or_b64 exec, exec, s[88:89]
	v_add_u32_e32 v2, 0xffffff81, v31
	v_cndmask_b32_e32 v2, v2, v48, vcc
	v_lshrrev_b32_e32 v20, 23, v19
	v_add3_u32 v31, v36, v2, v20
	v_add_u32_e32 v28, 14, v31
	v_and_b32_e32 v2, 0x1fffff, v27
	v_add_u32_e32 v2, v2, v19
	v_cmp_ne_u32_e32 vcc, 0, v28
                                        ; implicit-def: $vgpr19_vgpr20
                                        ; implicit-def: $vgpr27
	s_and_saveexec_b64 s[18:19], vcc
	s_xor_b64 s[18:19], exec, s[18:19]
; %bb.173:                              ;   in Loop: Header=BB0_71 Depth=2
	v_cmp_lt_u64_e32 vcc, s[60:61], v[2:3]
	v_add_u32_e32 v19, 15, v31
	v_cndmask_b32_e32 v27, v28, v19, vcc
	v_cndmask_b32_e64 v19, 0, 1, vcc
	v_lshrrev_b64 v[19:20], v19, v[2:3]
; %bb.174:                              ;   in Loop: Header=BB0_71 Depth=2
	s_andn2_saveexec_b64 s[18:19], s[18:19]
; %bb.175:                              ;   in Loop: Header=BB0_71 Depth=2
	v_mov_b32_e32 v20, v3
	v_bfe_u32 v27, v2, 23, 1
	v_mov_b32_e32 v19, v2
; %bb.176:                              ;   in Loop: Header=BB0_71 Depth=2
	s_or_b64 exec, exec, s[18:19]
	v_lshrrev_b64 v[19:20], 21, v[19:20]
	v_cmp_gt_i32_e32 vcc, 32, v27
	v_cndmask_b32_e32 v20, 0, v20, vcc
	v_cndmask_b32_e32 v19, 3, v19, vcc
	v_min_i32_e32 v2, 31, v27
	v_cmp_eq_u64_e64 s[18:19], 0, v[19:20]
	v_lshlrev_b32_e32 v2, 2, v2
	v_cmp_eq_u32_e32 vcc, 0, v27
	v_and_b32_e32 v2, 0xfc, v2
	v_and_or_b32 v2, v19, 3, v2
	s_and_b64 s[18:19], vcc, s[18:19]
	v_cndmask_b32_e64 v2, v2, 0, s[18:19]
	v_or_b32_e32 v31, v2, v0
.LBB0_177:                              ;   in Loop: Header=BB0_71 Depth=2
	s_or_b64 exec, exec, s[78:79]
                                        ; implicit-def: $vgpr0
.LBB0_178:                              ;   in Loop: Header=BB0_71 Depth=2
	s_andn2_saveexec_b64 s[18:19], s[76:77]
; %bb.179:                              ;   in Loop: Header=BB0_71 Depth=2
	v_or_b32_e32 v31, 0x7b, v0
; %bb.180:                              ;   in Loop: Header=BB0_71 Depth=2
	s_or_b64 exec, exec, s[18:19]
                                        ; implicit-def: $vgpr19
.LBB0_181:                              ;   in Loop: Header=BB0_71 Depth=2
	s_andn2_saveexec_b64 s[18:19], s[74:75]
	s_cbranch_execz .LBB0_187
; %bb.182:                              ;   in Loop: Header=BB0_71 Depth=2
	v_cmp_ne_u64_e32 vcc, 0, v[2:3]
                                        ; implicit-def: $vgpr31
	s_and_saveexec_b64 s[74:75], vcc
	s_xor_b64 s[74:75], exec, s[74:75]
; %bb.183:                              ;   in Loop: Header=BB0_71 Depth=2
	v_or_b32_sdwa v31, v19, s50 dst_sel:DWORD dst_unused:UNUSED_PAD src0_sel:BYTE_3 src1_sel:DWORD
                                        ; implicit-def: $vgpr19
; %bb.184:                              ;   in Loop: Header=BB0_71 Depth=2
	s_andn2_saveexec_b64 s[74:75], s[74:75]
; %bb.185:                              ;   in Loop: Header=BB0_71 Depth=2
	v_cmp_lt_i32_e32 vcc, -1, v19
	v_cndmask_b32_e32 v31, v49, v11, vcc
; %bb.186:                              ;   in Loop: Header=BB0_71 Depth=2
	s_or_b64 exec, exec, s[74:75]
.LBB0_187:                              ;   in Loop: Header=BB0_71 Depth=2
	s_or_b64 exec, exec, s[18:19]
	v_alignbit_b32 v2, v32, v33, v26
	v_cmp_ne_u16_sdwa s[74:75], v2, v3 src0_sel:BYTE_0 src1_sel:DWORD
	v_mov_b32_e32 v0, 0
	s_and_saveexec_b64 s[18:19], s[74:75]
	s_cbranch_execz .LBB0_195
; %bb.188:                              ;   in Loop: Header=BB0_71 Depth=2
	v_cmp_ne_u16_sdwa s[76:77], sext(v2), s38 src0_sel:BYTE_0 src1_sel:DWORD
	v_bfrev_b32_e32 v0, 1
	s_and_saveexec_b64 s[74:75], s[76:77]
	s_cbranch_execz .LBB0_194
; %bb.189:                              ;   in Loop: Header=BB0_71 Depth=2
	v_and_b32_e32 v0, 0x7c, v2
	v_and_b32_e32 v19, 3, v2
	v_cmp_ne_u32_e32 vcc, s39, v0
                                        ; implicit-def: $vgpr0
	s_and_saveexec_b64 s[76:77], vcc
	s_xor_b64 s[76:77], exec, s[76:77]
	s_cbranch_execz .LBB0_191
; %bb.190:                              ;   in Loop: Header=BB0_71 Depth=2
	v_ffbh_u32_e32 v20, v19
	v_min_u32_e32 v20, 32, v20
	v_bfe_u32 v0, v2, 2, 5
	v_subrev_u32_e32 v27, 29, v20
	v_lshlrev_b64 v[27:28], v27, v[2:3]
	v_sub_u32_e32 v20, 30, v20
	v_cmp_eq_u32_e32 vcc, 0, v0
	v_cndmask_b32_e32 v0, v0, v20, vcc
	v_lshlrev_b32_e32 v20, 24, v2
	v_and_b32_e32 v27, 3, v27
	v_and_b32_e32 v20, 0x80000000, v20
	v_cndmask_b32_e32 v19, v19, v27, vcc
	v_lshl_add_u32 v0, v0, 23, v20
	v_lshl_or_b32 v0, v19, 21, v0
	v_add_u32_e32 v0, 0x38000000, v0
                                        ; implicit-def: $vgpr19
.LBB0_191:                              ;   in Loop: Header=BB0_71 Depth=2
	s_andn2_saveexec_b64 s[76:77], s[76:77]
; %bb.192:                              ;   in Loop: Header=BB0_71 Depth=2
	v_cmp_gt_i16_sdwa vcc, sext(v2), v7 src0_sel:BYTE_0 src1_sel:DWORD
	v_cndmask_b32_e32 v0, v8, v54, vcc
	v_cmp_eq_u32_e32 vcc, 0, v19
	v_cndmask_b32_e32 v0, v55, v0, vcc
; %bb.193:                              ;   in Loop: Header=BB0_71 Depth=2
	s_or_b64 exec, exec, s[76:77]
.LBB0_194:                              ;   in Loop: Header=BB0_71 Depth=2
	s_or_b64 exec, exec, s[74:75]
.LBB0_195:                              ;   in Loop: Header=BB0_71 Depth=2
	s_or_b64 exec, exec, s[18:19]
	v_mul_f32_e32 v27, v62, v0
	v_and_b32_e32 v32, 0x7f800000, v27
	v_mov_b32_e32 v33, v3
	v_cmp_ne_u64_e32 vcc, s[56:57], v[32:33]
	v_and_b32_e32 v19, 0x7fffff, v27
	v_mov_b32_e32 v20, v3
                                        ; implicit-def: $vgpr32
	s_and_saveexec_b64 s[18:19], vcc
	s_xor_b64 s[74:75], exec, s[18:19]
	s_cbranch_execz .LBB0_209
; %bb.196:                              ;   in Loop: Header=BB0_71 Depth=2
	v_and_b32_e32 v32, 0x7fffffff, v27
	v_mov_b32_e32 v33, v3
	v_cmp_gt_u64_e32 vcc, s[58:59], v[32:33]
	v_and_b32_sdwa v0, v27, s48 dst_sel:DWORD dst_unused:UNUSED_PAD src0_sel:BYTE_3 src1_sel:DWORD
                                        ; implicit-def: $vgpr32
	s_and_saveexec_b64 s[18:19], vcc
	s_xor_b64 s[76:77], exec, s[18:19]
	s_cbranch_execz .LBB0_206
; %bb.197:                              ;   in Loop: Header=BB0_71 Depth=2
	v_mov_b32_e32 v32, 0
	v_cmp_ne_u32_e32 vcc, 0, v27
	s_and_saveexec_b64 s[78:79], vcc
	s_cbranch_execz .LBB0_205
; %bb.198:                              ;   in Loop: Header=BB0_71 Depth=2
	v_bfe_u32 v32, v27, 23, 8
	v_cmp_gt_u32_e64 s[18:19], s49, v32
	v_sub_u32_e32 v27, 0x71, v32
	v_cmp_eq_u32_e32 vcc, 0, v32
	v_cndmask_b32_e64 v27, 0, v27, s[18:19]
	v_cndmask_b32_e32 v33, v27, v12, vcc
	v_or_b32_e32 v28, 0x800000, v19
	v_add_u32_e32 v27, 21, v33
	v_cndmask_b32_e32 v19, v28, v19, vcc
	v_lshlrev_b64 v[27:28], v27, -1
	v_add_u32_e32 v36, 20, v33
	v_bfi_b32 v27, v27, 0, v19
	v_lshlrev_b64 v[36:37], v36, 1
	v_lshrrev_b64 v[19:20], v33, v[19:20]
	v_bfi_b32 v28, v28, 0, 0
	v_cmp_eq_u64_e64 s[18:19], v[27:28], v[36:37]
	v_mov_b32_e32 v28, v20
	v_mov_b32_e32 v27, v19
	s_and_saveexec_b64 s[88:89], s[18:19]
; %bb.199:                              ;   in Loop: Header=BB0_71 Depth=2
	v_bfe_u32 v20, v19, 21, 1
	v_add_co_u32_e64 v20, s[18:19], v19, v20
	v_add_co_u32_e64 v27, s[18:19], -1, v20
; %bb.200:                              ;   in Loop: Header=BB0_71 Depth=2
	s_or_b64 exec, exec, s[88:89]
	v_add_u32_e32 v20, 0xffffff81, v32
	v_cndmask_b32_e32 v20, v20, v48, vcc
	v_lshrrev_b32_e32 v28, 23, v19
	v_add3_u32 v32, v33, v20, v28
	v_add_u32_e32 v28, 14, v32
	v_and_b32_e32 v20, 0x1fffff, v27
	v_add_u32_e32 v19, v20, v19
	v_mov_b32_e32 v20, v3
	v_cmp_ne_u32_e32 vcc, 0, v28
                                        ; implicit-def: $vgpr27
	s_and_saveexec_b64 s[18:19], vcc
	s_xor_b64 s[18:19], exec, s[18:19]
; %bb.201:                              ;   in Loop: Header=BB0_71 Depth=2
	v_cmp_lt_u64_e32 vcc, s[60:61], v[19:20]
	v_add_u32_e32 v27, 15, v32
	v_cndmask_b32_e32 v27, v28, v27, vcc
	v_cndmask_b32_e64 v28, 0, 1, vcc
	v_lshrrev_b64 v[19:20], v28, v[19:20]
; %bb.202:                              ;   in Loop: Header=BB0_71 Depth=2
	s_andn2_saveexec_b64 s[18:19], s[18:19]
; %bb.203:                              ;   in Loop: Header=BB0_71 Depth=2
	v_bfe_u32 v27, v19, 23, 1
; %bb.204:                              ;   in Loop: Header=BB0_71 Depth=2
	s_or_b64 exec, exec, s[18:19]
	v_lshrrev_b64 v[19:20], 21, v[19:20]
	v_cmp_gt_i32_e32 vcc, 32, v27
	v_cndmask_b32_e32 v20, 0, v20, vcc
	v_cndmask_b32_e32 v19, 3, v19, vcc
	v_cmp_eq_u64_e64 s[18:19], 0, v[19:20]
	v_min_i32_e32 v20, 31, v27
	v_lshlrev_b32_e32 v20, 2, v20
	v_cmp_eq_u32_e32 vcc, 0, v27
	v_and_b32_e32 v20, 0xfc, v20
	v_and_or_b32 v19, v19, 3, v20
	s_and_b64 s[18:19], vcc, s[18:19]
	v_cndmask_b32_e64 v19, v19, 0, s[18:19]
	v_or_b32_e32 v32, v19, v0
.LBB0_205:                              ;   in Loop: Header=BB0_71 Depth=2
	s_or_b64 exec, exec, s[78:79]
                                        ; implicit-def: $vgpr0
.LBB0_206:                              ;   in Loop: Header=BB0_71 Depth=2
	s_andn2_saveexec_b64 s[18:19], s[76:77]
; %bb.207:                              ;   in Loop: Header=BB0_71 Depth=2
	v_or_b32_e32 v32, 0x7b, v0
; %bb.208:                              ;   in Loop: Header=BB0_71 Depth=2
	s_or_b64 exec, exec, s[18:19]
                                        ; implicit-def: $vgpr27
                                        ; implicit-def: $vgpr19_vgpr20
.LBB0_209:                              ;   in Loop: Header=BB0_71 Depth=2
	s_andn2_saveexec_b64 s[18:19], s[74:75]
	s_cbranch_execz .LBB0_215
; %bb.210:                              ;   in Loop: Header=BB0_71 Depth=2
	v_cmp_ne_u64_e32 vcc, 0, v[19:20]
                                        ; implicit-def: $vgpr32
	s_and_saveexec_b64 s[74:75], vcc
	s_xor_b64 s[74:75], exec, s[74:75]
; %bb.211:                              ;   in Loop: Header=BB0_71 Depth=2
	v_or_b32_sdwa v32, v27, s50 dst_sel:DWORD dst_unused:UNUSED_PAD src0_sel:BYTE_3 src1_sel:DWORD
                                        ; implicit-def: $vgpr27
; %bb.212:                              ;   in Loop: Header=BB0_71 Depth=2
	s_andn2_saveexec_b64 s[74:75], s[74:75]
; %bb.213:                              ;   in Loop: Header=BB0_71 Depth=2
	v_cmp_lt_i32_e32 vcc, -1, v27
	v_cndmask_b32_e32 v32, v49, v11, vcc
; %bb.214:                              ;   in Loop: Header=BB0_71 Depth=2
	s_or_b64 exec, exec, s[74:75]
.LBB0_215:                              ;   in Loop: Header=BB0_71 Depth=2
	s_or_b64 exec, exec, s[18:19]
	v_lshrrev_b16_e32 v19, 8, v2
	v_cmp_ne_u16_e32 vcc, 0, v19
	v_mov_b32_e32 v0, 0
	s_and_saveexec_b64 s[18:19], vcc
	s_cbranch_execz .LBB0_223
; %bb.216:                              ;   in Loop: Header=BB0_71 Depth=2
	v_cmp_ne_u16_e32 vcc, s48, v19
	v_bfrev_b32_e32 v0, 1
	s_and_saveexec_b64 s[74:75], vcc
	s_cbranch_execz .LBB0_222
; %bb.217:                              ;   in Loop: Header=BB0_71 Depth=2
	v_and_b32_e32 v0, 0x7c, v19
	v_and_b32_e32 v27, 3, v19
	v_cmp_ne_u32_e32 vcc, s39, v0
                                        ; implicit-def: $vgpr0
	s_and_saveexec_b64 s[76:77], vcc
	s_xor_b64 s[76:77], exec, s[76:77]
	s_cbranch_execz .LBB0_219
; %bb.218:                              ;   in Loop: Header=BB0_71 Depth=2
	v_ffbh_u32_e32 v28, v27
	v_min_u32_e32 v28, 32, v28
	v_mov_b32_e32 v20, v3
	v_subrev_u32_e32 v33, 29, v28
	v_bfe_u32 v0, v19, 2, 5
	v_lshlrev_b64 v[19:20], v33, v[19:20]
	v_sub_u32_e32 v20, 30, v28
	v_cmp_eq_u32_e32 vcc, 0, v0
	v_cndmask_b32_e32 v0, v0, v20, vcc
	v_lshlrev_b32_e32 v20, 16, v2
	v_and_b32_e32 v19, 3, v19
	v_and_b32_e32 v20, 0x80000000, v20
	v_cndmask_b32_e32 v19, v27, v19, vcc
	v_lshl_add_u32 v0, v0, 23, v20
	v_lshl_or_b32 v0, v19, 21, v0
	v_add_u32_e32 v0, 0x38000000, v0
                                        ; implicit-def: $vgpr27
.LBB0_219:                              ;   in Loop: Header=BB0_71 Depth=2
	s_andn2_saveexec_b64 s[76:77], s[76:77]
; %bb.220:                              ;   in Loop: Header=BB0_71 Depth=2
	v_cmp_lt_i16_e32 vcc, -1, v2
	v_cndmask_b32_e32 v0, v8, v54, vcc
	v_cmp_eq_u32_e32 vcc, 0, v27
	v_cndmask_b32_e32 v0, v55, v0, vcc
; %bb.221:                              ;   in Loop: Header=BB0_71 Depth=2
	s_or_b64 exec, exec, s[76:77]
.LBB0_222:                              ;   in Loop: Header=BB0_71 Depth=2
	s_or_b64 exec, exec, s[74:75]
.LBB0_223:                              ;   in Loop: Header=BB0_71 Depth=2
	s_or_b64 exec, exec, s[18:19]
	v_mul_f32_e32 v27, v62, v0
	v_and_b32_e32 v36, 0x7f800000, v27
	v_mov_b32_e32 v37, v3
	v_cmp_ne_u64_e32 vcc, s[56:57], v[36:37]
	v_and_b32_e32 v19, 0x7fffff, v27
	v_mov_b32_e32 v20, v3
                                        ; implicit-def: $vgpr33
	s_and_saveexec_b64 s[18:19], vcc
	s_xor_b64 s[74:75], exec, s[18:19]
	s_cbranch_execz .LBB0_237
; %bb.224:                              ;   in Loop: Header=BB0_71 Depth=2
	v_and_b32_e32 v36, 0x7fffffff, v27
	v_mov_b32_e32 v37, v3
	v_cmp_gt_u64_e32 vcc, s[58:59], v[36:37]
	v_and_b32_sdwa v0, v27, s48 dst_sel:DWORD dst_unused:UNUSED_PAD src0_sel:BYTE_3 src1_sel:DWORD
                                        ; implicit-def: $vgpr33
	s_and_saveexec_b64 s[18:19], vcc
	s_xor_b64 s[76:77], exec, s[18:19]
	s_cbranch_execz .LBB0_234
; %bb.225:                              ;   in Loop: Header=BB0_71 Depth=2
	v_mov_b32_e32 v33, 0
	v_cmp_ne_u32_e32 vcc, 0, v27
	s_and_saveexec_b64 s[78:79], vcc
	s_cbranch_execz .LBB0_233
; %bb.226:                              ;   in Loop: Header=BB0_71 Depth=2
	v_bfe_u32 v33, v27, 23, 8
	v_cmp_gt_u32_e64 s[18:19], s49, v33
	v_sub_u32_e32 v27, 0x71, v33
	v_cmp_eq_u32_e32 vcc, 0, v33
	v_cndmask_b32_e64 v27, 0, v27, s[18:19]
	v_cndmask_b32_e32 v36, v27, v12, vcc
	v_or_b32_e32 v28, 0x800000, v19
	v_add_u32_e32 v27, 21, v36
	v_cndmask_b32_e32 v19, v28, v19, vcc
	v_lshlrev_b64 v[27:28], v27, -1
	v_add_u32_e32 v37, 20, v36
	v_bfi_b32 v27, v27, 0, v19
	v_lshlrev_b64 v[37:38], v37, 1
	v_lshrrev_b64 v[19:20], v36, v[19:20]
	v_bfi_b32 v28, v28, 0, 0
	v_cmp_eq_u64_e64 s[18:19], v[27:28], v[37:38]
	v_mov_b32_e32 v28, v20
	v_mov_b32_e32 v27, v19
	s_and_saveexec_b64 s[88:89], s[18:19]
; %bb.227:                              ;   in Loop: Header=BB0_71 Depth=2
	v_bfe_u32 v20, v19, 21, 1
	v_add_co_u32_e64 v20, s[18:19], v19, v20
	v_add_co_u32_e64 v27, s[18:19], -1, v20
; %bb.228:                              ;   in Loop: Header=BB0_71 Depth=2
	s_or_b64 exec, exec, s[88:89]
	v_add_u32_e32 v20, 0xffffff81, v33
	v_cndmask_b32_e32 v20, v20, v48, vcc
	v_lshrrev_b32_e32 v28, 23, v19
	v_add3_u32 v33, v36, v20, v28
	v_add_u32_e32 v28, 14, v33
	v_and_b32_e32 v20, 0x1fffff, v27
	v_add_u32_e32 v19, v20, v19
	v_mov_b32_e32 v20, v3
	v_cmp_ne_u32_e32 vcc, 0, v28
                                        ; implicit-def: $vgpr27
	s_and_saveexec_b64 s[18:19], vcc
	s_xor_b64 s[18:19], exec, s[18:19]
; %bb.229:                              ;   in Loop: Header=BB0_71 Depth=2
	v_cmp_lt_u64_e32 vcc, s[60:61], v[19:20]
	v_add_u32_e32 v27, 15, v33
	v_cndmask_b32_e32 v27, v28, v27, vcc
	v_cndmask_b32_e64 v28, 0, 1, vcc
	v_lshrrev_b64 v[19:20], v28, v[19:20]
; %bb.230:                              ;   in Loop: Header=BB0_71 Depth=2
	s_andn2_saveexec_b64 s[18:19], s[18:19]
; %bb.231:                              ;   in Loop: Header=BB0_71 Depth=2
	v_bfe_u32 v27, v19, 23, 1
; %bb.232:                              ;   in Loop: Header=BB0_71 Depth=2
	s_or_b64 exec, exec, s[18:19]
	v_lshrrev_b64 v[19:20], 21, v[19:20]
	v_cmp_gt_i32_e32 vcc, 32, v27
	v_cndmask_b32_e32 v20, 0, v20, vcc
	v_cndmask_b32_e32 v19, 3, v19, vcc
	v_cmp_eq_u64_e64 s[18:19], 0, v[19:20]
	v_min_i32_e32 v20, 31, v27
	v_lshlrev_b32_e32 v20, 2, v20
	v_cmp_eq_u32_e32 vcc, 0, v27
	v_and_b32_e32 v20, 0xfc, v20
	v_and_or_b32 v19, v19, 3, v20
	s_and_b64 s[18:19], vcc, s[18:19]
	v_cndmask_b32_e64 v19, v19, 0, s[18:19]
	v_or_b32_e32 v33, v19, v0
.LBB0_233:                              ;   in Loop: Header=BB0_71 Depth=2
	s_or_b64 exec, exec, s[78:79]
                                        ; implicit-def: $vgpr0
.LBB0_234:                              ;   in Loop: Header=BB0_71 Depth=2
	s_andn2_saveexec_b64 s[18:19], s[76:77]
; %bb.235:                              ;   in Loop: Header=BB0_71 Depth=2
	v_or_b32_e32 v33, 0x7b, v0
; %bb.236:                              ;   in Loop: Header=BB0_71 Depth=2
	s_or_b64 exec, exec, s[18:19]
                                        ; implicit-def: $vgpr27
                                        ; implicit-def: $vgpr19_vgpr20
.LBB0_237:                              ;   in Loop: Header=BB0_71 Depth=2
	s_andn2_saveexec_b64 s[18:19], s[74:75]
	s_cbranch_execz .LBB0_243
; %bb.238:                              ;   in Loop: Header=BB0_71 Depth=2
	v_cmp_ne_u64_e32 vcc, 0, v[19:20]
                                        ; implicit-def: $vgpr33
	s_and_saveexec_b64 s[74:75], vcc
	s_xor_b64 s[74:75], exec, s[74:75]
; %bb.239:                              ;   in Loop: Header=BB0_71 Depth=2
	v_or_b32_sdwa v33, v27, s50 dst_sel:DWORD dst_unused:UNUSED_PAD src0_sel:BYTE_3 src1_sel:DWORD
                                        ; implicit-def: $vgpr27
; %bb.240:                              ;   in Loop: Header=BB0_71 Depth=2
	s_andn2_saveexec_b64 s[74:75], s[74:75]
; %bb.241:                              ;   in Loop: Header=BB0_71 Depth=2
	v_cmp_lt_i32_e32 vcc, -1, v27
	v_cndmask_b32_e32 v33, v49, v11, vcc
; %bb.242:                              ;   in Loop: Header=BB0_71 Depth=2
	s_or_b64 exec, exec, s[74:75]
.LBB0_243:                              ;   in Loop: Header=BB0_71 Depth=2
	s_or_b64 exec, exec, s[18:19]
	v_and_b32_sdwa v20, v2, s37 dst_sel:DWORD dst_unused:UNUSED_PAD src0_sel:WORD_1 src1_sel:DWORD
	v_lshrrev_b32_e32 v0, 16, v2
	v_cmp_ne_u16_e32 vcc, 0, v20
	v_mov_b32_e32 v19, 0
	s_and_saveexec_b64 s[18:19], vcc
	s_cbranch_execz .LBB0_251
; %bb.244:                              ;   in Loop: Header=BB0_71 Depth=2
	v_cmp_ne_u16_e32 vcc, s48, v20
	v_bfrev_b32_e32 v19, 1
	s_and_saveexec_b64 s[74:75], vcc
	s_cbranch_execz .LBB0_250
; %bb.245:                              ;   in Loop: Header=BB0_71 Depth=2
	v_and_b32_e32 v19, 0x7c0000, v2
	v_bfe_u32 v20, v2, 16, 2
	v_cmp_ne_u32_e32 vcc, s51, v19
                                        ; implicit-def: $vgpr19
	s_and_saveexec_b64 s[76:77], vcc
	s_xor_b64 s[76:77], exec, s[76:77]
	s_cbranch_execz .LBB0_247
; %bb.246:                              ;   in Loop: Header=BB0_71 Depth=2
	v_ffbh_u32_e32 v27, v20
	v_min_u32_e32 v36, 32, v27
	v_subrev_u32_e32 v27, 29, v36
	v_lshlrev_b64 v[27:28], v27, v[0:1]
	v_bfe_u32 v19, v2, 18, 5
	v_sub_u32_e32 v0, 30, v36
	v_and_b32_e32 v27, 3, v27
	v_cmp_eq_u32_e32 vcc, 0, v19
	v_cndmask_b32_e32 v0, v19, v0, vcc
	v_cndmask_b32_e32 v19, v20, v27, vcc
	v_lshlrev_b32_e32 v20, 8, v2
	v_and_b32_e32 v20, 0x80000000, v20
	v_lshl_add_u32 v0, v0, 23, v20
	v_lshl_or_b32 v0, v19, 21, v0
	v_add_u32_e32 v19, 0x38000000, v0
                                        ; implicit-def: $vgpr20
                                        ; implicit-def: $vgpr0
.LBB0_247:                              ;   in Loop: Header=BB0_71 Depth=2
	s_andn2_saveexec_b64 s[76:77], s[76:77]
; %bb.248:                              ;   in Loop: Header=BB0_71 Depth=2
	v_cmp_gt_i16_sdwa vcc, sext(v0), v7 src0_sel:BYTE_0 src1_sel:DWORD
	v_cndmask_b32_e32 v0, v8, v54, vcc
	v_cmp_eq_u32_e32 vcc, 0, v20
	v_cndmask_b32_e32 v19, v55, v0, vcc
; %bb.249:                              ;   in Loop: Header=BB0_71 Depth=2
	s_or_b64 exec, exec, s[76:77]
.LBB0_250:                              ;   in Loop: Header=BB0_71 Depth=2
	s_or_b64 exec, exec, s[74:75]
.LBB0_251:                              ;   in Loop: Header=BB0_71 Depth=2
	s_or_b64 exec, exec, s[18:19]
	v_mul_f32_e32 v27, v62, v19
	v_and_b32_e32 v36, 0x7f800000, v27
	v_mov_b32_e32 v37, v3
	v_cmp_ne_u64_e32 vcc, s[56:57], v[36:37]
	v_and_b32_e32 v19, 0x7fffff, v27
	v_mov_b32_e32 v20, v3
                                        ; implicit-def: $vgpr36
	s_and_saveexec_b64 s[18:19], vcc
	s_xor_b64 s[74:75], exec, s[18:19]
	s_cbranch_execz .LBB0_265
; %bb.252:                              ;   in Loop: Header=BB0_71 Depth=2
	v_and_b32_e32 v36, 0x7fffffff, v27
	v_mov_b32_e32 v37, v3
	v_cmp_gt_u64_e32 vcc, s[58:59], v[36:37]
	v_and_b32_sdwa v0, v27, s48 dst_sel:DWORD dst_unused:UNUSED_PAD src0_sel:BYTE_3 src1_sel:DWORD
                                        ; implicit-def: $vgpr36
	s_and_saveexec_b64 s[18:19], vcc
	s_xor_b64 s[76:77], exec, s[18:19]
	s_cbranch_execz .LBB0_262
; %bb.253:                              ;   in Loop: Header=BB0_71 Depth=2
	v_mov_b32_e32 v36, 0
	v_cmp_ne_u32_e32 vcc, 0, v27
	s_and_saveexec_b64 s[78:79], vcc
	s_cbranch_execz .LBB0_261
; %bb.254:                              ;   in Loop: Header=BB0_71 Depth=2
	v_bfe_u32 v36, v27, 23, 8
	v_cmp_gt_u32_e64 s[18:19], s49, v36
	v_sub_u32_e32 v27, 0x71, v36
	v_cmp_eq_u32_e32 vcc, 0, v36
	v_cndmask_b32_e64 v27, 0, v27, s[18:19]
	v_cndmask_b32_e32 v37, v27, v12, vcc
	v_or_b32_e32 v28, 0x800000, v19
	v_add_u32_e32 v27, 21, v37
	v_cndmask_b32_e32 v19, v28, v19, vcc
	v_lshlrev_b64 v[27:28], v27, -1
	v_add_u32_e32 v38, 20, v37
	v_bfi_b32 v27, v27, 0, v19
	v_lshlrev_b64 v[38:39], v38, 1
	v_lshrrev_b64 v[19:20], v37, v[19:20]
	v_bfi_b32 v28, v28, 0, 0
	v_cmp_eq_u64_e64 s[18:19], v[27:28], v[38:39]
	v_mov_b32_e32 v28, v20
	v_mov_b32_e32 v27, v19
	s_and_saveexec_b64 s[88:89], s[18:19]
; %bb.255:                              ;   in Loop: Header=BB0_71 Depth=2
	v_bfe_u32 v20, v19, 21, 1
	v_add_co_u32_e64 v20, s[18:19], v19, v20
	v_add_co_u32_e64 v27, s[18:19], -1, v20
; %bb.256:                              ;   in Loop: Header=BB0_71 Depth=2
	s_or_b64 exec, exec, s[88:89]
	v_add_u32_e32 v20, 0xffffff81, v36
	v_cndmask_b32_e32 v20, v20, v48, vcc
	v_lshrrev_b32_e32 v28, 23, v19
	v_add3_u32 v36, v37, v20, v28
	v_add_u32_e32 v28, 14, v36
	v_and_b32_e32 v20, 0x1fffff, v27
	v_add_u32_e32 v19, v20, v19
	v_mov_b32_e32 v20, v3
	v_cmp_ne_u32_e32 vcc, 0, v28
                                        ; implicit-def: $vgpr27
	s_and_saveexec_b64 s[18:19], vcc
	s_xor_b64 s[18:19], exec, s[18:19]
; %bb.257:                              ;   in Loop: Header=BB0_71 Depth=2
	v_cmp_lt_u64_e32 vcc, s[60:61], v[19:20]
	v_add_u32_e32 v27, 15, v36
	v_cndmask_b32_e32 v27, v28, v27, vcc
	v_cndmask_b32_e64 v28, 0, 1, vcc
	v_lshrrev_b64 v[19:20], v28, v[19:20]
; %bb.258:                              ;   in Loop: Header=BB0_71 Depth=2
	s_andn2_saveexec_b64 s[18:19], s[18:19]
; %bb.259:                              ;   in Loop: Header=BB0_71 Depth=2
	v_bfe_u32 v27, v19, 23, 1
; %bb.260:                              ;   in Loop: Header=BB0_71 Depth=2
	s_or_b64 exec, exec, s[18:19]
	v_lshrrev_b64 v[19:20], 21, v[19:20]
	v_cmp_gt_i32_e32 vcc, 32, v27
	v_cndmask_b32_e32 v20, 0, v20, vcc
	v_cndmask_b32_e32 v19, 3, v19, vcc
	v_cmp_eq_u64_e64 s[18:19], 0, v[19:20]
	v_min_i32_e32 v20, 31, v27
	v_lshlrev_b32_e32 v20, 2, v20
	v_cmp_eq_u32_e32 vcc, 0, v27
	v_and_b32_e32 v20, 0xfc, v20
	v_and_or_b32 v19, v19, 3, v20
	s_and_b64 s[18:19], vcc, s[18:19]
	v_cndmask_b32_e64 v19, v19, 0, s[18:19]
	v_or_b32_e32 v36, v19, v0
.LBB0_261:                              ;   in Loop: Header=BB0_71 Depth=2
	s_or_b64 exec, exec, s[78:79]
                                        ; implicit-def: $vgpr0
.LBB0_262:                              ;   in Loop: Header=BB0_71 Depth=2
	s_andn2_saveexec_b64 s[18:19], s[76:77]
; %bb.263:                              ;   in Loop: Header=BB0_71 Depth=2
	v_or_b32_e32 v36, 0x7b, v0
; %bb.264:                              ;   in Loop: Header=BB0_71 Depth=2
	s_or_b64 exec, exec, s[18:19]
                                        ; implicit-def: $vgpr27
                                        ; implicit-def: $vgpr19_vgpr20
.LBB0_265:                              ;   in Loop: Header=BB0_71 Depth=2
	s_andn2_saveexec_b64 s[18:19], s[74:75]
	s_cbranch_execz .LBB0_271
; %bb.266:                              ;   in Loop: Header=BB0_71 Depth=2
	v_cmp_ne_u64_e32 vcc, 0, v[19:20]
                                        ; implicit-def: $vgpr36
	s_and_saveexec_b64 s[74:75], vcc
	s_xor_b64 s[74:75], exec, s[74:75]
; %bb.267:                              ;   in Loop: Header=BB0_71 Depth=2
	v_or_b32_sdwa v36, v27, s50 dst_sel:DWORD dst_unused:UNUSED_PAD src0_sel:BYTE_3 src1_sel:DWORD
                                        ; implicit-def: $vgpr27
; %bb.268:                              ;   in Loop: Header=BB0_71 Depth=2
	s_andn2_saveexec_b64 s[74:75], s[74:75]
; %bb.269:                              ;   in Loop: Header=BB0_71 Depth=2
	v_cmp_lt_i32_e32 vcc, -1, v27
	v_cndmask_b32_e32 v36, v49, v11, vcc
; %bb.270:                              ;   in Loop: Header=BB0_71 Depth=2
	s_or_b64 exec, exec, s[74:75]
.LBB0_271:                              ;   in Loop: Header=BB0_71 Depth=2
	s_or_b64 exec, exec, s[18:19]
	v_cmp_lt_u32_e32 vcc, s47, v2
	v_mov_b32_e32 v19, 0
	s_and_saveexec_b64 s[18:19], vcc
	s_cbranch_execz .LBB0_279
; %bb.272:                              ;   in Loop: Header=BB0_71 Depth=2
	v_lshrrev_b32_e32 v0, 24, v2
	v_cmp_ne_u32_e32 vcc, s48, v0
	v_bfrev_b32_e32 v19, 1
	s_and_saveexec_b64 s[74:75], vcc
	s_cbranch_execz .LBB0_278
; %bb.273:                              ;   in Loop: Header=BB0_71 Depth=2
	v_and_b32_e32 v19, 0x7c000000, v2
	v_bfe_u32 v20, v2, 24, 2
	v_cmp_ne_u32_e32 vcc, s52, v19
                                        ; implicit-def: $vgpr19
	s_and_saveexec_b64 s[76:77], vcc
	s_xor_b64 s[76:77], exec, s[76:77]
	s_cbranch_execz .LBB0_275
; %bb.274:                              ;   in Loop: Header=BB0_71 Depth=2
	v_ffbh_u32_e32 v27, v20
	v_min_u32_e32 v37, 32, v27
	v_subrev_u32_e32 v27, 29, v37
	v_bfe_u32 v19, v2, 26, 5
	v_lshlrev_b64 v[27:28], v27, v[0:1]
	v_sub_u32_e32 v0, 30, v37
	v_cmp_eq_u32_e32 vcc, 0, v19
	v_and_b32_e32 v27, 3, v27
	v_cndmask_b32_e32 v0, v19, v0, vcc
	v_and_b32_e32 v2, 0x80000000, v2
	v_cndmask_b32_e32 v19, v20, v27, vcc
	v_lshl_add_u32 v0, v0, 23, v2
	v_lshl_or_b32 v0, v19, 21, v0
	v_add_u32_e32 v19, 0x38000000, v0
                                        ; implicit-def: $vgpr20
.LBB0_275:                              ;   in Loop: Header=BB0_71 Depth=2
	s_andn2_saveexec_b64 s[76:77], s[76:77]
; %bb.276:                              ;   in Loop: Header=BB0_71 Depth=2
	v_cmp_lt_i32_e32 vcc, -1, v2
	v_cndmask_b32_e32 v0, v8, v54, vcc
	v_cmp_eq_u32_e32 vcc, 0, v20
	v_cndmask_b32_e32 v19, v55, v0, vcc
; %bb.277:                              ;   in Loop: Header=BB0_71 Depth=2
	s_or_b64 exec, exec, s[76:77]
.LBB0_278:                              ;   in Loop: Header=BB0_71 Depth=2
	s_or_b64 exec, exec, s[74:75]
.LBB0_279:                              ;   in Loop: Header=BB0_71 Depth=2
	s_or_b64 exec, exec, s[18:19]
	v_mul_f32_e32 v20, v62, v19
	v_and_b32_e32 v27, 0x7f800000, v20
	v_mov_b32_e32 v28, v3
	v_cmp_ne_u64_e32 vcc, s[56:57], v[27:28]
	v_and_b32_e32 v2, 0x7fffff, v20
                                        ; implicit-def: $vgpr19
	s_and_saveexec_b64 s[18:19], vcc
	s_xor_b64 s[74:75], exec, s[18:19]
	s_cbranch_execz .LBB0_293
; %bb.280:                              ;   in Loop: Header=BB0_71 Depth=2
	v_and_b32_e32 v27, 0x7fffffff, v20
	v_mov_b32_e32 v28, v3
	v_cmp_gt_u64_e32 vcc, s[58:59], v[27:28]
	v_and_b32_sdwa v0, v20, s48 dst_sel:DWORD dst_unused:UNUSED_PAD src0_sel:BYTE_3 src1_sel:DWORD
                                        ; implicit-def: $vgpr19
	s_and_saveexec_b64 s[18:19], vcc
	s_xor_b64 s[76:77], exec, s[18:19]
	s_cbranch_execz .LBB0_290
; %bb.281:                              ;   in Loop: Header=BB0_71 Depth=2
	v_mov_b32_e32 v19, 0
	v_cmp_ne_u32_e32 vcc, 0, v20
	s_and_saveexec_b64 s[78:79], vcc
	s_cbranch_execz .LBB0_289
; %bb.282:                              ;   in Loop: Header=BB0_71 Depth=2
	v_bfe_u32 v37, v20, 23, 8
	v_cmp_gt_u32_e64 s[18:19], s49, v37
	v_sub_u32_e32 v19, 0x71, v37
	v_cmp_eq_u32_e32 vcc, 0, v37
	v_cndmask_b32_e64 v19, 0, v19, s[18:19]
	v_cndmask_b32_e32 v42, v19, v12, vcc
	v_or_b32_e32 v20, 0x800000, v2
	v_add_u32_e32 v19, 21, v42
	v_cndmask_b32_e32 v2, v20, v2, vcc
	v_lshlrev_b64 v[19:20], v19, -1
	v_add_u32_e32 v27, 20, v42
	v_lshlrev_b64 v[27:28], v27, 1
	v_bfi_b32 v20, v20, 0, 0
	v_bfi_b32 v19, v19, 0, v2
	v_cmp_eq_u64_e64 s[18:19], v[19:20], v[27:28]
	v_lshrrev_b64 v[19:20], v42, v[2:3]
	v_mov_b32_e32 v28, v20
	v_mov_b32_e32 v27, v19
	s_and_saveexec_b64 s[88:89], s[18:19]
; %bb.283:                              ;   in Loop: Header=BB0_71 Depth=2
	v_bfe_u32 v2, v19, 21, 1
	v_add_co_u32_e64 v2, s[18:19], v19, v2
	v_add_co_u32_e64 v27, s[18:19], -1, v2
; %bb.284:                              ;   in Loop: Header=BB0_71 Depth=2
	s_or_b64 exec, exec, s[88:89]
	v_add_u32_e32 v2, 0xffffff81, v37
	v_cndmask_b32_e32 v2, v2, v48, vcc
	v_lshrrev_b32_e32 v20, 23, v19
	v_add3_u32 v37, v42, v2, v20
	v_add_u32_e32 v28, 14, v37
	v_and_b32_e32 v2, 0x1fffff, v27
	v_add_u32_e32 v2, v2, v19
	v_cmp_ne_u32_e32 vcc, 0, v28
                                        ; implicit-def: $vgpr19_vgpr20
                                        ; implicit-def: $vgpr27
	s_and_saveexec_b64 s[18:19], vcc
	s_xor_b64 s[18:19], exec, s[18:19]
; %bb.285:                              ;   in Loop: Header=BB0_71 Depth=2
	v_cmp_lt_u64_e32 vcc, s[60:61], v[2:3]
	v_add_u32_e32 v19, 15, v37
	v_cndmask_b32_e32 v27, v28, v19, vcc
	v_cndmask_b32_e64 v19, 0, 1, vcc
	v_lshrrev_b64 v[19:20], v19, v[2:3]
; %bb.286:                              ;   in Loop: Header=BB0_71 Depth=2
	s_andn2_saveexec_b64 s[18:19], s[18:19]
; %bb.287:                              ;   in Loop: Header=BB0_71 Depth=2
	v_mov_b32_e32 v20, v3
	v_bfe_u32 v27, v2, 23, 1
	v_mov_b32_e32 v19, v2
; %bb.288:                              ;   in Loop: Header=BB0_71 Depth=2
	s_or_b64 exec, exec, s[18:19]
	v_lshrrev_b64 v[19:20], 21, v[19:20]
	v_cmp_gt_i32_e32 vcc, 32, v27
	v_cndmask_b32_e32 v20, 0, v20, vcc
	v_cndmask_b32_e32 v19, 3, v19, vcc
	v_min_i32_e32 v2, 31, v27
	v_cmp_eq_u64_e64 s[18:19], 0, v[19:20]
	v_lshlrev_b32_e32 v2, 2, v2
	v_cmp_eq_u32_e32 vcc, 0, v27
	v_and_b32_e32 v2, 0xfc, v2
	v_and_or_b32 v2, v19, 3, v2
	s_and_b64 s[18:19], vcc, s[18:19]
	v_cndmask_b32_e64 v2, v2, 0, s[18:19]
	v_or_b32_e32 v19, v2, v0
.LBB0_289:                              ;   in Loop: Header=BB0_71 Depth=2
	s_or_b64 exec, exec, s[78:79]
                                        ; implicit-def: $vgpr0
.LBB0_290:                              ;   in Loop: Header=BB0_71 Depth=2
	s_andn2_saveexec_b64 s[18:19], s[76:77]
; %bb.291:                              ;   in Loop: Header=BB0_71 Depth=2
	v_or_b32_e32 v19, 0x7b, v0
; %bb.292:                              ;   in Loop: Header=BB0_71 Depth=2
	s_or_b64 exec, exec, s[18:19]
                                        ; implicit-def: $vgpr20
.LBB0_293:                              ;   in Loop: Header=BB0_71 Depth=2
	s_andn2_saveexec_b64 s[18:19], s[74:75]
	s_cbranch_execz .LBB0_70
; %bb.294:                              ;   in Loop: Header=BB0_71 Depth=2
	v_cmp_ne_u64_e32 vcc, 0, v[2:3]
                                        ; implicit-def: $vgpr19
	s_and_saveexec_b64 s[74:75], vcc
	s_xor_b64 s[74:75], exec, s[74:75]
; %bb.295:                              ;   in Loop: Header=BB0_71 Depth=2
	v_or_b32_sdwa v19, v20, s50 dst_sel:DWORD dst_unused:UNUSED_PAD src0_sel:BYTE_3 src1_sel:DWORD
                                        ; implicit-def: $vgpr20
; %bb.296:                              ;   in Loop: Header=BB0_71 Depth=2
	s_andn2_saveexec_b64 s[74:75], s[74:75]
	s_cbranch_execz .LBB0_69
; %bb.297:                              ;   in Loop: Header=BB0_71 Depth=2
	v_cmp_lt_i32_e32 vcc, -1, v20
	v_cndmask_b32_e32 v19, v49, v11, vcc
	s_branch .LBB0_69
.LBB0_298:                              ;   in Loop: Header=BB0_32 Depth=1
	s_or_b64 exec, exec, s[72:73]
.LBB0_299:                              ;   in Loop: Header=BB0_32 Depth=1
	s_or_b64 exec, exec, s[62:63]
	v_and_b32_e32 v2, 0x7ffffff8, v21
	v_cmp_eq_u64_e32 vcc, s[44:45], v[2:3]
	v_cmp_gt_i32_e64 s[18:19], s36, v29
	s_and_b64 s[18:19], vcc, s[18:19]
	s_and_saveexec_b64 s[62:63], s[18:19]
	s_cbranch_execz .LBB0_302
; %bb.300:                              ;   in Loop: Header=BB0_32 Depth=1
	v_mul_lo_u32 v19, v10, s36
	v_ashrrev_i32_e32 v30, 31, v29
	v_lshlrev_b64 v[23:24], 4, v[29:30]
	v_mov_b32_e32 v17, v3
	v_ashrrev_i32_e32 v20, 31, v19
	v_lshlrev_b64 v[19:20], 4, v[19:20]
	s_mov_b64 s[72:73], 0
	s_waitcnt lgkmcnt(0)
	v_add_co_u32_e32 v0, vcc, v23, v19
	v_addc_co_u32_e32 v2, vcc, v24, v20, vcc
	buffer_load_dword v19, off, s[0:3], s32 offset:76 ; 4-byte Folded Reload
	buffer_load_dword v20, off, s[0:3], s32 offset:80 ; 4-byte Folded Reload
	s_waitcnt vmcnt(1)
	v_add_co_u32_e32 v27, vcc, v19, v0
	s_waitcnt vmcnt(0)
	v_addc_co_u32_e32 v28, vcc, v20, v2, vcc
.LBB0_301:                              ;   Parent Loop BB0_32 Depth=1
                                        ; =>  This Inner Loop Header: Depth=2
	v_mov_b32_e32 v19, v17
	v_mov_b32_e32 v20, v18
	v_add_u32_e32 v29, v29, v1
	global_store_dwordx4 v[27:28], v[17:20], off
	v_add_co_u32_e32 v27, vcc, v27, v5
	v_cmp_le_i32_e64 s[18:19], s36, v29
	s_or_b64 s[72:73], s[18:19], s[72:73]
	v_addc_co_u32_e32 v28, vcc, v28, v6, vcc
	s_andn2_b64 exec, exec, s[72:73]
	s_cbranch_execnz .LBB0_301
.LBB0_302:                              ;   in Loop: Header=BB0_32 Depth=1
	s_or_b64 exec, exec, s[62:63]
	buffer_load_dword v17, off, s[0:3], s32 offset:156 ; 4-byte Folded Reload
	buffer_load_dword v18, off, s[0:3], s32 offset:160 ; 4-byte Folded Reload
	v_add_co_u32_e64 v46, s[18:19], 1, v21
	v_addc_co_u32_e64 v47, s[18:19], 0, v22, s[18:19]
	s_waitcnt vmcnt(0)
	v_add_co_u32_e32 v23, vcc, v58, v17
	buffer_store_dword v58, off, s[0:3], s32 offset:144 ; 4-byte Folded Spill
	s_nop 0
	buffer_store_dword v59, off, s[0:3], s32 offset:148 ; 4-byte Folded Spill
	v_addc_co_u32_e32 v24, vcc, v59, v18, vcc
	s_andn2_b64 vcc, exec, s[42:43]
	s_cbranch_vccnz .LBB0_896
; %bb.303:                              ;   in Loop: Header=BB0_32 Depth=1
	s_waitcnt lgkmcnt(0)
	buffer_load_dword v0, off, s[0:3], s32 offset:220 ; 4-byte Folded Reload
	v_add_u16_e32 v26, 1, v21
	s_mov_b32 s53, 2
	buffer_store_dword v23, off, s[0:3], s32 offset:196 ; 4-byte Folded Spill
	buffer_store_dword v24, off, s[0:3], s32 offset:200 ; 4-byte Folded Spill
	s_waitcnt vmcnt(2)
	v_add_co_u32_e32 v17, vcc, v0, v23
	buffer_load_dword v0, off, s[0:3], s32 offset:224 ; 4-byte Folded Reload
	s_waitcnt vmcnt(0)
	v_addc_co_u32_e32 v18, vcc, v0, v24, vcc
	buffer_store_dword v17, off, s[0:3], s32 offset:112 ; 4-byte Folded Spill
	s_nop 0
	buffer_store_dword v18, off, s[0:3], s32 offset:116 ; 4-byte Folded Spill
	s_branch .LBB0_305
.LBB0_304:                              ;   in Loop: Header=BB0_305 Depth=2
	s_or_b64 exec, exec, s[62:63]
	v_add_co_u32_e32 v34, vcc, 1, v34
	v_addc_co_u32_e32 v35, vcc, 0, v35, vcc
	s_add_i32 s53, s53, 1
	v_add_co_u32_e32 v46, vcc, 1, v46
	v_addc_co_u32_e32 v47, vcc, 0, v47, vcc
	s_cmp_eq_u32 s53, s20
	v_add_u16_e32 v26, 1, v26
	s_cbranch_scc1 .LBB0_897
.LBB0_305:                              ;   Parent Loop BB0_32 Depth=1
                                        ; =>  This Loop Header: Depth=2
                                        ;       Child Loop BB0_310 Depth 3
                                        ;       Child Loop BB0_329 Depth 3
	;; [unrolled: 1-line block ×3, first 2 shown]
                                        ;         Child Loop BB0_358 Depth 4
                                        ;       Child Loop BB0_885 Depth 3
                                        ;       Child Loop BB0_346 Depth 3
	s_sub_i32 s26, s20, s53
	s_lshl_b64 s[18:19], s[26:27], 2
	s_waitcnt lgkmcnt(0)
	v_mov_b32_e32 v0, s19
	v_add_co_u32_e32 v17, vcc, s18, v60
	v_addc_co_u32_e32 v18, vcc, v61, v0, vcc
	flat_load_dword v0, v[17:18]
	s_and_saveexec_b64 s[62:63], s[6:7]
	s_cbranch_execz .LBB0_321
; %bb.306:                              ;   in Loop: Header=BB0_305 Depth=2
	v_add_co_u32_e32 v17, vcc, 1, v15
	v_addc_co_u32_e32 v18, vcc, 0, v16, vcc
	v_add_co_u32_e32 v19, vcc, 8, v52
	v_addc_co_u32_e32 v20, vcc, 0, v53, vcc
	v_cmp_lt_u64_e32 vcc, v[19:20], v[17:18]
	s_and_saveexec_b64 s[72:73], vcc
	s_cbranch_execz .LBB0_318
; %bb.307:                              ;   in Loop: Header=BB0_305 Depth=2
	s_mov_b32 s26, 0
	v_cmp_eq_u32_e32 vcc, 0, v9
	s_mov_b64 s[74:75], 0
                                        ; implicit-def: $sgpr76_sgpr77
                                        ; implicit-def: $sgpr78_sgpr79
                                        ; implicit-def: $sgpr88_sgpr89
	s_branch .LBB0_310
.LBB0_308:                              ;   in Loop: Header=BB0_310 Depth=3
	s_or_b64 exec, exec, s[34:35]
	s_andn2_b64 s[18:19], s[88:89], exec
	s_and_b64 s[88:89], s[94:95], exec
	s_or_b64 s[88:89], s[18:19], s[88:89]
	s_andn2_b64 s[18:19], s[78:79], exec
	s_and_b64 s[78:79], s[92:93], exec
	s_or_b64 s[78:79], s[18:19], s[78:79]
.LBB0_309:                              ;   in Loop: Header=BB0_310 Depth=3
	s_or_b64 exec, exec, s[90:91]
	s_and_b64 s[18:19], exec, s[78:79]
	s_or_b64 s[74:75], s[18:19], s[74:75]
	s_andn2_b64 s[18:19], s[76:77], exec
	s_and_b64 s[76:77], s[88:89], exec
	s_or_b64 s[76:77], s[18:19], s[76:77]
	s_andn2_b64 exec, exec, s[74:75]
	s_cbranch_execz .LBB0_315
.LBB0_310:                              ;   Parent Loop BB0_32 Depth=1
                                        ;     Parent Loop BB0_305 Depth=2
                                        ; =>    This Inner Loop Header: Depth=3
	s_sleep 1
	s_waitcnt vmcnt(0) lgkmcnt(0)
	flat_load_dwordx2 v[52:53], v[50:51] glc
	v_mov_b32_e32 v9, 1
	s_or_b64 s[88:89], s[88:89], exec
	s_or_b64 s[78:79], s[78:79], exec
                                        ; implicit-def: $vgpr2
	s_and_saveexec_b64 s[90:91], vcc
	s_cbranch_execz .LBB0_309
; %bb.311:                              ;   in Loop: Header=BB0_310 Depth=3
	s_add_i32 s26, s26, 1
	s_cmpk_lg_i32 s26, 0x2710
	s_cselect_b64 s[30:31], -1, 0
	s_cmpk_eq_i32 s26, 0x2710
	s_mov_b64 s[92:93], -1
	s_mov_b64 s[94:95], -1
                                        ; implicit-def: $vgpr2
	s_cbranch_scc1 .LBB0_313
; %bb.312:                              ;   in Loop: Header=BB0_310 Depth=3
	v_mov_b32_e32 v9, 1
	s_and_saveexec_b64 s[34:35], s[30:31]
	s_cbranch_execz .LBB0_308
	s_branch .LBB0_314
.LBB0_313:                              ;   in Loop: Header=BB0_310 Depth=3
	s_trap 2
	s_waitcnt vmcnt(0) lgkmcnt(0)
	ds_read_b64 v[9:10], v0
	s_andn2_b64 s[30:31], s[30:31], exec
	s_mov_b32 s26, 0
	s_mov_b64 s[94:95], 0
	s_waitcnt lgkmcnt(0)
	flat_load_dword v2, v[9:10] glc
	s_waitcnt vmcnt(0) lgkmcnt(0)
	buffer_wbinvl1_vol
	v_cmp_eq_u32_e64 s[18:19], 0, v2
	s_and_b64 s[18:19], s[18:19], exec
	s_or_b64 s[30:31], s[30:31], s[18:19]
	v_mov_b32_e32 v9, 1
	s_and_saveexec_b64 s[34:35], s[30:31]
	s_cbranch_execz .LBB0_308
.LBB0_314:                              ;   in Loop: Header=BB0_310 Depth=3
	s_waitcnt vmcnt(0) lgkmcnt(0)
	v_add_co_u32_e64 v9, s[18:19], 8, v52
	v_addc_co_u32_e64 v10, s[18:19], 0, v53, s[18:19]
	v_cmp_ge_u64_e64 s[18:19], v[9:10], v[17:18]
	v_mov_b32_e32 v9, 0
	s_or_b64 s[94:95], s[94:95], exec
	s_orn2_b64 s[92:93], s[18:19], exec
	s_branch .LBB0_308
.LBB0_315:                              ;   in Loop: Header=BB0_305 Depth=2
	s_or_b64 exec, exec, s[74:75]
	s_xor_b64 s[18:19], s[76:77], -1
	s_and_saveexec_b64 s[74:75], s[18:19]
	s_xor_b64 s[18:19], exec, s[74:75]
	s_cbranch_execz .LBB0_317
; %bb.316:                              ;   in Loop: Header=BB0_305 Depth=2
	v_mov_b32_e32 v9, 1
	s_waitcnt vmcnt(0) lgkmcnt(0)
	ds_write_b32 v0, v2
	s_trap 2
.LBB0_317:                              ;   in Loop: Header=BB0_305 Depth=2
	s_or_b64 exec, exec, s[18:19]
.LBB0_318:                              ;   in Loop: Header=BB0_305 Depth=2
	s_or_b64 exec, exec, s[72:73]
	s_and_saveexec_b64 s[18:19], s[8:9]
	s_cbranch_execz .LBB0_320
; %bb.319:                              ;   in Loop: Header=BB0_305 Depth=2
	v_and_b32_e32 v2, 0x7ffffff8, v15
	v_cmp_eq_u64_e32 vcc, s[44:45], v[2:3]
	buffer_load_dword v2, off, s[0:3], s32 offset:128 ; 4-byte Folded Reload
	v_and_b32_e32 v10, 7, v15
	v_mad_u64_u32 v[15:16], s[72:73], v10, 24, v[13:14]
	v_mov_b32_e32 v10, s21
	s_waitcnt vmcnt(0)
	v_cndmask_b32_e32 v19, v2, v10, vcc
	v_ashrrev_i32_e32 v20, 31, v19
	flat_store_dwordx2 v[15:16], v[19:20] offset:8
	s_waitcnt vmcnt(0)
.LBB0_320:                              ;   in Loop: Header=BB0_305 Depth=2
	s_or_b64 exec, exec, s[18:19]
	v_mov_b32_e32 v15, v17
	v_mov_b32_e32 v16, v18
.LBB0_321:                              ;   in Loop: Header=BB0_305 Depth=2
	s_or_b64 exec, exec, s[62:63]
	s_and_saveexec_b64 s[18:19], s[10:11]
	s_cbranch_execz .LBB0_340
; %bb.322:                              ;   in Loop: Header=BB0_305 Depth=2
	s_and_saveexec_b64 s[62:63], s[40:41]
	s_xor_b64 s[62:63], exec, s[62:63]
	s_cbranch_execz .LBB0_337
; %bb.323:                              ;   in Loop: Header=BB0_305 Depth=2
	s_and_saveexec_b64 s[72:73], s[12:13]
	s_cbranch_execz .LBB0_336
; %bb.324:                              ;   in Loop: Header=BB0_305 Depth=2
	s_mov_b64 s[76:77], exec
	v_mbcnt_lo_u32_b32 v2, s76, 0
	v_mbcnt_hi_u32_b32 v2, s77, v2
	v_cmp_eq_u32_e32 vcc, 0, v2
	s_waitcnt vmcnt(0) lgkmcnt(0)
	buffer_wbinvl1_vol
	s_and_saveexec_b64 s[74:75], vcc
	s_cbranch_execz .LBB0_326
; %bb.325:                              ;   in Loop: Header=BB0_305 Depth=2
	s_bcnt1_i32_b64 s26, s[76:77]
	v_mov_b32_e32 v2, s26
	ds_add_u64 v0, v[2:3]
	s_trap 2
.LBB0_326:                              ;   in Loop: Header=BB0_305 Depth=2
	s_or_b64 exec, exec, s[74:75]
	s_trap 2
	ds_read_b64 v[17:18], v0
	s_waitcnt lgkmcnt(0)
	buffer_load_dword v2, off, s[0:3], s32 offset:132 ; 4-byte Folded Reload
	s_waitcnt vmcnt(0)
	v_add_co_u32_e32 v40, vcc, v40, v2
	v_addc_co_u32_e32 v41, vcc, 0, v41, vcc
	v_cmp_lt_u64_e32 vcc, v[17:18], v[40:41]
	s_and_saveexec_b64 s[74:75], vcc
	s_cbranch_execz .LBB0_335
; %bb.327:                              ;   in Loop: Header=BB0_305 Depth=2
	s_mov_b32 s26, 0
	s_mov_b64 s[76:77], 0
                                        ; implicit-def: $sgpr78_sgpr79
                                        ; implicit-def: $sgpr88_sgpr89
	s_branch .LBB0_329
.LBB0_328:                              ;   in Loop: Header=BB0_329 Depth=3
	s_or_b64 exec, exec, s[92:93]
	s_and_b64 s[90:91], exec, s[94:95]
	s_or_b64 s[76:77], s[90:91], s[76:77]
	s_andn2_b64 s[78:79], s[78:79], exec
	s_and_b64 s[90:91], s[88:89], exec
	s_or_b64 s[78:79], s[78:79], s[90:91]
	s_andn2_b64 exec, exec, s[76:77]
	s_cbranch_execz .LBB0_333
.LBB0_329:                              ;   Parent Loop BB0_32 Depth=1
                                        ;     Parent Loop BB0_305 Depth=2
                                        ; =>    This Inner Loop Header: Depth=3
	s_add_i32 s26, s26, 1
	s_cmpk_lg_i32 s26, 0x2710
	s_cselect_b64 s[90:91], -1, 0
	s_and_b64 vcc, exec, s[90:91]
	s_cbranch_vccz .LBB0_331
; %bb.330:                              ;   in Loop: Header=BB0_329 Depth=3
	s_mov_b64 s[94:95], -1
	s_or_b64 s[88:89], s[88:89], exec
	s_and_saveexec_b64 s[92:93], s[90:91]
	s_cbranch_execz .LBB0_328
	s_branch .LBB0_332
.LBB0_331:                              ;   in Loop: Header=BB0_329 Depth=3
	s_trap 2
	ds_read_b64 v[17:18], v0
	s_andn2_b64 s[90:91], s[90:91], exec
	s_mov_b32 s26, 0
	s_waitcnt lgkmcnt(0)
	flat_load_dword v2, v[17:18] glc
	s_waitcnt vmcnt(0) lgkmcnt(0)
	buffer_wbinvl1_vol
	v_cmp_eq_u32_e32 vcc, 0, v2
	s_and_b64 s[92:93], vcc, exec
	s_or_b64 s[90:91], s[90:91], s[92:93]
	s_mov_b64 s[94:95], -1
	s_or_b64 s[88:89], s[88:89], exec
	s_and_saveexec_b64 s[92:93], s[90:91]
	s_cbranch_execz .LBB0_328
.LBB0_332:                              ;   in Loop: Header=BB0_329 Depth=3
	s_sleep 1
	s_trap 2
	ds_read_b64 v[17:18], v0
	s_waitcnt lgkmcnt(0)
	s_andn2_b64 s[88:89], s[88:89], exec
	v_cmp_ge_u64_e32 vcc, v[17:18], v[40:41]
	s_orn2_b64 s[94:95], vcc, exec
	s_branch .LBB0_328
.LBB0_333:                              ;   in Loop: Header=BB0_305 Depth=2
	s_or_b64 exec, exec, s[76:77]
	s_and_saveexec_b64 s[76:77], s[78:79]
	s_xor_b64 s[76:77], exec, s[76:77]
	s_cbranch_execz .LBB0_335
; %bb.334:                              ;   in Loop: Header=BB0_305 Depth=2
	v_mov_b32_e32 v2, 1
	ds_write_b32 v0, v2
	s_trap 2
.LBB0_335:                              ;   in Loop: Header=BB0_305 Depth=2
	s_or_b64 exec, exec, s[74:75]
	;;#ASMSTART
	s_wakeup
	;;#ASMEND
.LBB0_336:                              ;   in Loop: Header=BB0_305 Depth=2
	s_or_b64 exec, exec, s[72:73]
.LBB0_337:                              ;   in Loop: Header=BB0_305 Depth=2
	s_andn2_saveexec_b64 s[62:63], s[62:63]
	s_cbranch_execz .LBB0_339
; %bb.338:                              ;   in Loop: Header=BB0_305 Depth=2
	s_waitcnt vmcnt(0) lgkmcnt(0)
	buffer_wbinvl1_vol
	s_barrier
.LBB0_339:                              ;   in Loop: Header=BB0_305 Depth=2
	s_or_b64 exec, exec, s[62:63]
.LBB0_340:                              ;   in Loop: Header=BB0_305 Depth=2
	s_or_b64 exec, exec, s[18:19]
	buffer_load_dword v58, off, s[0:3], s32 offset:60 ; 4-byte Folded Reload
	buffer_load_dword v59, off, s[0:3], s32 offset:64 ; 4-byte Folded Reload
	v_add_u32_e32 v18, 1, v46
	s_and_saveexec_b64 s[62:63], s[16:17]
	s_cbranch_execnz .LBB0_347
; %bb.341:                              ;   in Loop: Header=BB0_305 Depth=2
	s_or_b64 exec, exec, s[62:63]
	s_and_saveexec_b64 s[18:19], s[10:11]
	s_cbranch_execnz .LBB0_878
.LBB0_342:                              ;   in Loop: Header=BB0_305 Depth=2
	s_or_b64 exec, exec, s[18:19]
	s_and_saveexec_b64 s[18:19], s[14:15]
	s_cbranch_execz .LBB0_344
.LBB0_343:                              ;   in Loop: Header=BB0_305 Depth=2
	buffer_load_dword v19, off, s[0:3], s32 offset:96 ; 4-byte Folded Reload
	buffer_load_dword v20, off, s[0:3], s32 offset:100 ; 4-byte Folded Reload
	s_waitcnt vmcnt(0)
	v_add_co_u32_e32 v43, vcc, 1, v43
	v_addc_co_u32_e32 v44, vcc, 0, v44, vcc
	flat_store_dwordx2 v[19:20], v[43:44]
.LBB0_344:                              ;   in Loop: Header=BB0_305 Depth=2
	s_or_b64 exec, exec, s[18:19]
	v_and_b32_e32 v2, 0x7ffffff8, v46
	v_cmp_eq_u64_e32 vcc, s[44:45], v[2:3]
	s_waitcnt vmcnt(0)
	v_cmp_gt_i32_e64 s[18:19], s36, v58
	s_and_b64 s[18:19], vcc, s[18:19]
	s_and_saveexec_b64 s[62:63], s[18:19]
	s_cbranch_execz .LBB0_304
; %bb.345:                              ;   in Loop: Header=BB0_305 Depth=2
	s_waitcnt lgkmcnt(0)
	v_and_b32_e32 v0, 7, v26
	v_mul_lo_u32 v19, s36, v0
	v_ashrrev_i32_e32 v59, 31, v58
	v_lshlrev_b64 v[21:22], 4, v[58:59]
	v_mov_b32_e32 v17, v3
	v_ashrrev_i32_e32 v20, 31, v19
	v_lshlrev_b64 v[19:20], 4, v[19:20]
	s_mov_b64 s[72:73], 0
	v_add_co_u32_e32 v0, vcc, v21, v19
	v_addc_co_u32_e32 v2, vcc, v22, v20, vcc
	buffer_load_dword v19, off, s[0:3], s32 offset:76 ; 4-byte Folded Reload
	buffer_load_dword v20, off, s[0:3], s32 offset:80 ; 4-byte Folded Reload
	s_waitcnt vmcnt(1)
	v_add_co_u32_e32 v21, vcc, v19, v0
	s_waitcnt vmcnt(0)
	v_addc_co_u32_e32 v22, vcc, v20, v2, vcc
.LBB0_346:                              ;   Parent Loop BB0_32 Depth=1
                                        ;     Parent Loop BB0_305 Depth=2
                                        ; =>    This Inner Loop Header: Depth=3
	v_mov_b32_e32 v19, v17
	v_mov_b32_e32 v20, v18
	v_add_u32_e32 v58, v58, v1
	global_store_dwordx4 v[21:22], v[17:20], off
	v_add_co_u32_e32 v21, vcc, v21, v5
	v_cmp_le_i32_e64 s[18:19], s36, v58
	s_or_b64 s[72:73], s[18:19], s[72:73]
	v_addc_co_u32_e32 v22, vcc, v22, v6, vcc
	s_andn2_b64 exec, exec, s[72:73]
	s_cbranch_execnz .LBB0_346
	s_branch .LBB0_304
.LBB0_347:                              ;   in Loop: Header=BB0_305 Depth=2
	buffer_store_dword v43, off, s[0:3], s32 offset:68 ; 4-byte Folded Spill
	s_nop 0
	buffer_store_dword v44, off, s[0:3], s32 offset:72 ; 4-byte Folded Spill
	buffer_load_dword v10, off, s[0:3], s32 offset:88 ; 4-byte Folded Reload
	buffer_load_dword v19, off, s[0:3], s32 offset:112 ; 4-byte Folded Reload
	;; [unrolled: 1-line block ×6, first 2 shown]
	s_waitcnt vmcnt(0) lgkmcnt(0)
	v_ashrrev_i32_e32 v2, 31, v0
	v_add_u32_e32 v44, 1, v34
	s_mov_b64 s[72:73], 0
	v_mul_lo_u32 v2, v10, v2
	v_mad_u64_u32 v[60:61], s[18:19], v10, v0, v[19:20]
	v_mul_lo_u32 v0, v17, v0
	v_and_b32_e32 v10, 7, v34
	v_mul_lo_u32 v19, v10, s36
	v_mov_b32_e32 v10, v4
	v_add3_u32 v61, v0, v61, v2
	v_and_b32_e32 v0, 7, v46
	v_mul_lo_u32 v21, v0, s36
	v_ashrrev_i32_e32 v20, 31, v19
	v_lshlrev_b64 v[19:20], 4, v[19:20]
	v_add_co_u32_e32 v32, vcc, v22, v19
	v_ashrrev_i32_e32 v22, 31, v21
	v_addc_co_u32_e32 v33, vcc, v23, v20, vcc
	v_lshlrev_b64 v[19:20], 4, v[21:22]
	buffer_load_dword v21, off, s[0:3], s32 offset:76 ; 4-byte Folded Reload
	buffer_load_dword v22, off, s[0:3], s32 offset:80 ; 4-byte Folded Reload
	buffer_load_dword v58, off, s[0:3], s32 offset:60 ; 4-byte Folded Reload
	buffer_load_dword v59, off, s[0:3], s32 offset:64 ; 4-byte Folded Reload
	s_waitcnt vmcnt(3)
	v_add_co_u32_e32 v45, vcc, v21, v19
	s_waitcnt vmcnt(2)
	v_addc_co_u32_e32 v31, vcc, v22, v20, vcc
	s_branch .LBB0_350
.LBB0_348:                              ;   in Loop: Header=BB0_350 Depth=3
	s_or_b64 exec, exec, s[74:75]
.LBB0_349:                              ;   in Loop: Header=BB0_350 Depth=3
	s_or_b64 exec, exec, s[18:19]
	v_add_co_u32_e32 v60, vcc, v60, v25
	v_addc_co_u32_e32 v61, vcc, 0, v61, vcc
	v_lshlrev_b32_e32 v0, 8, v56
	v_lshlrev_b32_e32 v2, 16, v42
	v_or3_b32 v0, v0, v17, v2
	v_lshlrev_b32_e32 v17, 8, v23
	v_lshlrev_b32_e32 v20, 16, v27
	v_add_co_u32_e32 v21, vcc, v45, v29
	v_or3_b32 v20, v17, v22, v20
	v_addc_co_u32_e32 v22, vcc, v31, v30, vcc
	v_sub_u32_e32 v10, v10, v25
	v_lshlrev_b32_e32 v2, 24, v24
	v_lshlrev_b32_e32 v19, 24, v19
	v_cmp_gt_i32_e32 vcc, 1, v10
	v_or3_b32 v17, v0, v2, 0
	v_or3_b32 v19, v20, v19, 0
	v_mov_b32_e32 v20, v18
	s_or_b64 s[72:73], vcc, s[72:73]
	v_add_u32_e32 v58, v58, v1
	global_store_dwordx4 v[21:22], v[17:20], off
	s_andn2_b64 exec, exec, s[72:73]
	s_cbranch_execz .LBB0_877
.LBB0_350:                              ;   Parent Loop BB0_32 Depth=1
                                        ;     Parent Loop BB0_305 Depth=2
                                        ; =>    This Loop Header: Depth=3
                                        ;         Child Loop BB0_358 Depth 4
	v_and_b32_e32 v19, -4, v60
	v_mov_b32_e32 v20, v61
	global_load_dword v0, v[19:20], off glc slc
	v_min_u32_e32 v2, 8, v10
	v_and_b32_e32 v17, 3, v60
	v_add_u32_e32 v2, v17, v2
	v_cmp_lt_u32_e32 vcc, 4, v2
	v_mov_b32_e32 v23, 0
	v_mov_b32_e32 v36, 0
	s_and_saveexec_b64 s[18:19], vcc
	s_cbranch_execz .LBB0_352
; %bb.351:                              ;   in Loop: Header=BB0_350 Depth=3
	global_load_dword v36, v[19:20], off offset:4 glc slc
.LBB0_352:                              ;   in Loop: Header=BB0_350 Depth=3
	s_or_b64 exec, exec, s[18:19]
	v_cmp_lt_u64_e32 vcc, 8, v[2:3]
	s_and_saveexec_b64 s[18:19], vcc
	s_cbranch_execz .LBB0_354
; %bb.353:                              ;   in Loop: Header=BB0_350 Depth=3
	global_load_dword v23, v[19:20], off offset:8 glc slc
.LBB0_354:                              ;   in Loop: Header=BB0_350 Depth=3
	s_or_b64 exec, exec, s[18:19]
	s_waitcnt vmcnt(1)
	v_mov_b32_e32 v59, v3
	v_lshlrev_b64 v[29:30], 4, v[58:59]
	v_add_co_u32_e32 v27, vcc, v32, v29
	v_addc_co_u32_e32 v28, vcc, v33, v30, vcc
	global_load_dwordx4 v[19:22], v[27:28], off glc slc
	v_cmp_eq_u32_e32 vcc, 0, v9
	v_mov_b32_e32 v9, 1
	s_and_saveexec_b64 s[74:75], vcc
	s_cbranch_execz .LBB0_366
; %bb.355:                              ;   in Loop: Header=BB0_350 Depth=3
	s_waitcnt vmcnt(0)
	v_cmp_ne_u32_e32 vcc, v44, v20
	v_cmp_ne_u32_e64 s[18:19], v44, v22
	s_or_b64 s[18:19], vcc, s[18:19]
	v_mov_b32_e32 v9, 0
	s_and_saveexec_b64 s[76:77], s[18:19]
	s_cbranch_execz .LBB0_365
; %bb.356:                              ;   in Loop: Header=BB0_350 Depth=3
	s_mov_b32 s26, 1
	s_mov_b64 s[88:89], 0
                                        ; implicit-def: $sgpr78_sgpr79
                                        ; implicit-def: $sgpr90_sgpr91
	s_branch .LBB0_358
.LBB0_357:                              ;   in Loop: Header=BB0_358 Depth=4
	s_or_b64 exec, exec, s[94:95]
	s_and_b64 s[18:19], exec, s[18:19]
	s_or_b64 s[88:89], s[18:19], s[88:89]
	s_andn2_b64 s[18:19], s[78:79], exec
	s_and_b64 s[78:79], s[90:91], exec
	s_or_b64 s[78:79], s[18:19], s[78:79]
	s_andn2_b64 exec, exec, s[88:89]
	s_cbranch_execz .LBB0_362
.LBB0_358:                              ;   Parent Loop BB0_32 Depth=1
                                        ;     Parent Loop BB0_305 Depth=2
                                        ;       Parent Loop BB0_350 Depth=3
                                        ; =>      This Inner Loop Header: Depth=4
	global_load_dwordx4 v[19:22], v[27:28], off glc slc
	s_add_i32 s26, s26, 1
	s_mov_b64 s[18:19], -1
	s_cmpk_lg_i32 s26, 0x2710
	s_mov_b64 s[92:93], -1
                                        ; implicit-def: $vgpr2
	s_cbranch_scc0 .LBB0_360
; %bb.359:                              ;   in Loop: Header=BB0_358 Depth=4
	s_or_b64 s[90:91], s[90:91], exec
	s_and_saveexec_b64 s[94:95], s[92:93]
	s_cbranch_execz .LBB0_357
	s_branch .LBB0_361
.LBB0_360:                              ;   in Loop: Header=BB0_358 Depth=4
	s_trap 2
	ds_read_b64 v[37:38], v0
	s_mov_b32 s26, 0
	s_waitcnt vmcnt(0) lgkmcnt(0)
	flat_load_dword v2, v[37:38] glc
	s_waitcnt vmcnt(0) lgkmcnt(0)
	buffer_wbinvl1_vol
	v_cmp_eq_u32_e32 vcc, 0, v2
	s_orn2_b64 s[92:93], vcc, exec
	s_or_b64 s[90:91], s[90:91], exec
	s_and_saveexec_b64 s[94:95], s[92:93]
	s_cbranch_execz .LBB0_357
.LBB0_361:                              ;   in Loop: Header=BB0_358 Depth=4
	s_waitcnt vmcnt(0)
	v_cmp_eq_u32_e32 vcc, v44, v20
	v_cmp_eq_u32_e64 s[18:19], v44, v22
	s_and_b64 s[18:19], vcc, s[18:19]
	s_andn2_b64 s[90:91], s[90:91], exec
	s_orn2_b64 s[18:19], s[18:19], exec
	s_branch .LBB0_357
.LBB0_362:                              ;   in Loop: Header=BB0_350 Depth=3
	s_or_b64 exec, exec, s[88:89]
	v_mov_b32_e32 v9, 0
	s_and_saveexec_b64 s[18:19], s[78:79]
	s_xor_b64 s[18:19], exec, s[18:19]
	s_cbranch_execz .LBB0_364
; %bb.363:                              ;   in Loop: Header=BB0_350 Depth=3
	v_mov_b32_e32 v9, 1
	ds_write_b32 v0, v2
	s_trap 2
.LBB0_364:                              ;   in Loop: Header=BB0_350 Depth=3
	s_or_b64 exec, exec, s[18:19]
.LBB0_365:                              ;   in Loop: Header=BB0_350 Depth=3
	s_or_b64 exec, exec, s[76:77]
.LBB0_366:                              ;   in Loop: Header=BB0_350 Depth=3
	s_or_b64 exec, exec, s[74:75]
	v_lshlrev_b32_e32 v57, 3, v60
	s_waitcnt vmcnt(1)
	v_alignbit_b32 v2, v36, v0, v57
	v_cmp_ne_u16_sdwa s[74:75], v2, v3 src0_sel:BYTE_0 src1_sel:DWORD
	v_mov_b32_e32 v0, 0
	s_and_saveexec_b64 s[18:19], s[74:75]
	s_cbranch_execz .LBB0_374
; %bb.367:                              ;   in Loop: Header=BB0_350 Depth=3
	v_cmp_ne_u16_sdwa s[76:77], sext(v2), s38 src0_sel:BYTE_0 src1_sel:DWORD
	v_bfrev_b32_e32 v0, 1
	s_and_saveexec_b64 s[74:75], s[76:77]
	s_cbranch_execz .LBB0_373
; %bb.368:                              ;   in Loop: Header=BB0_350 Depth=3
	v_and_b32_e32 v0, 0x7c, v2
	v_and_b32_e32 v17, 3, v2
	v_cmp_ne_u32_e32 vcc, s39, v0
                                        ; implicit-def: $vgpr0
	s_and_saveexec_b64 s[76:77], vcc
	s_xor_b64 s[76:77], exec, s[76:77]
	s_cbranch_execz .LBB0_370
; %bb.369:                              ;   in Loop: Header=BB0_350 Depth=3
	v_ffbh_u32_e32 v24, v17
	v_min_u32_e32 v24, 32, v24
	v_bfe_u32 v0, v2, 2, 5
	v_subrev_u32_e32 v27, 29, v24
	v_lshlrev_b64 v[27:28], v27, v[2:3]
	v_sub_u32_e32 v24, 30, v24
	v_cmp_eq_u32_e32 vcc, 0, v0
	v_cndmask_b32_e32 v0, v0, v24, vcc
	v_lshlrev_b32_e32 v24, 24, v2
	v_and_b32_e32 v27, 3, v27
	v_and_b32_e32 v24, 0x80000000, v24
	v_cndmask_b32_e32 v17, v17, v27, vcc
	v_lshl_add_u32 v0, v0, 23, v24
	v_lshl_or_b32 v0, v17, 21, v0
	v_add_u32_e32 v0, 0x38000000, v0
                                        ; implicit-def: $vgpr17
.LBB0_370:                              ;   in Loop: Header=BB0_350 Depth=3
	s_andn2_saveexec_b64 s[76:77], s[76:77]
; %bb.371:                              ;   in Loop: Header=BB0_350 Depth=3
	v_cmp_gt_i16_sdwa vcc, sext(v2), v7 src0_sel:BYTE_0 src1_sel:DWORD
	v_cndmask_b32_e32 v0, v8, v54, vcc
	v_cmp_eq_u32_e32 vcc, 0, v17
	v_cndmask_b32_e32 v0, v55, v0, vcc
; %bb.372:                              ;   in Loop: Header=BB0_350 Depth=3
	s_or_b64 exec, exec, s[76:77]
.LBB0_373:                              ;   in Loop: Header=BB0_350 Depth=3
	s_or_b64 exec, exec, s[74:75]
.LBB0_374:                              ;   in Loop: Header=BB0_350 Depth=3
	s_or_b64 exec, exec, s[18:19]
	v_mul_f32_e32 v24, v62, v0
	v_and_b32_e32 v37, 0x7f800000, v24
	v_mov_b32_e32 v38, v3
	v_cmp_ne_u64_e32 vcc, s[56:57], v[37:38]
	v_and_b32_e32 v27, 0x7fffff, v24
	v_mov_b32_e32 v28, v3
                                        ; implicit-def: $vgpr17
	s_and_saveexec_b64 s[18:19], vcc
	s_xor_b64 s[74:75], exec, s[18:19]
	s_cbranch_execz .LBB0_388
; %bb.375:                              ;   in Loop: Header=BB0_350 Depth=3
	v_and_b32_e32 v37, 0x7fffffff, v24
	v_mov_b32_e32 v38, v3
	v_cmp_gt_u64_e32 vcc, s[58:59], v[37:38]
	v_and_b32_sdwa v0, v24, s48 dst_sel:DWORD dst_unused:UNUSED_PAD src0_sel:BYTE_3 src1_sel:DWORD
                                        ; implicit-def: $vgpr17
	s_and_saveexec_b64 s[18:19], vcc
	s_xor_b64 s[76:77], exec, s[18:19]
	s_cbranch_execz .LBB0_385
; %bb.376:                              ;   in Loop: Header=BB0_350 Depth=3
	v_mov_b32_e32 v17, 0
	v_cmp_ne_u32_e32 vcc, 0, v24
	s_and_saveexec_b64 s[78:79], vcc
	s_cbranch_execz .LBB0_384
; %bb.377:                              ;   in Loop: Header=BB0_350 Depth=3
	v_bfe_u32 v17, v24, 23, 8
	v_cmp_gt_u32_e64 s[18:19], s49, v17
	v_sub_u32_e32 v24, 0x71, v17
	v_cmp_eq_u32_e32 vcc, 0, v17
	v_cndmask_b32_e64 v24, 0, v24, s[18:19]
	v_or_b32_e32 v37, 0x800000, v27
	v_cndmask_b32_e32 v24, v24, v12, vcc
	v_cndmask_b32_e32 v27, v37, v27, vcc
	v_add_u32_e32 v37, 21, v24
	v_lshlrev_b64 v[37:38], v37, -1
	v_add_u32_e32 v39, 20, v24
	v_bfi_b32 v37, v37, 0, v27
	v_lshlrev_b64 v[42:43], v39, 1
	v_lshrrev_b64 v[27:28], v24, v[27:28]
	v_bfi_b32 v38, v38, 0, 0
	v_cmp_eq_u64_e64 s[18:19], v[37:38], v[42:43]
	v_mov_b32_e32 v43, v28
	v_mov_b32_e32 v42, v27
	s_and_saveexec_b64 s[88:89], s[18:19]
; %bb.378:                              ;   in Loop: Header=BB0_350 Depth=3
	v_bfe_u32 v28, v27, 21, 1
	v_add_co_u32_e64 v28, s[18:19], v27, v28
	v_add_co_u32_e64 v42, s[18:19], -1, v28
; %bb.379:                              ;   in Loop: Header=BB0_350 Depth=3
	s_or_b64 exec, exec, s[88:89]
	v_add_u32_e32 v17, 0xffffff81, v17
	v_cndmask_b32_e32 v17, v17, v48, vcc
	v_lshrrev_b32_e32 v28, 23, v27
	v_add3_u32 v37, v24, v17, v28
	v_add_u32_e32 v24, 14, v37
	v_and_b32_e32 v17, 0x1fffff, v42
	v_add_u32_e32 v27, v17, v27
	v_mov_b32_e32 v28, v3
	v_cmp_ne_u32_e32 vcc, 0, v24
                                        ; implicit-def: $vgpr17
	s_and_saveexec_b64 s[18:19], vcc
	s_xor_b64 s[18:19], exec, s[18:19]
; %bb.380:                              ;   in Loop: Header=BB0_350 Depth=3
	v_cmp_lt_u64_e32 vcc, s[60:61], v[27:28]
	v_add_u32_e32 v17, 15, v37
	v_cndmask_b32_e32 v17, v24, v17, vcc
	v_cndmask_b32_e64 v24, 0, 1, vcc
	v_lshrrev_b64 v[27:28], v24, v[27:28]
; %bb.381:                              ;   in Loop: Header=BB0_350 Depth=3
	s_andn2_saveexec_b64 s[18:19], s[18:19]
; %bb.382:                              ;   in Loop: Header=BB0_350 Depth=3
	v_bfe_u32 v17, v27, 23, 1
; %bb.383:                              ;   in Loop: Header=BB0_350 Depth=3
	s_or_b64 exec, exec, s[18:19]
	v_lshrrev_b64 v[27:28], 21, v[27:28]
	v_cmp_gt_i32_e32 vcc, 32, v17
	v_cndmask_b32_e32 v28, 0, v28, vcc
	v_cndmask_b32_e32 v27, 3, v27, vcc
	v_cmp_eq_u32_e32 vcc, 0, v17
	v_min_i32_e32 v17, 31, v17
	v_cmp_eq_u64_e64 s[18:19], 0, v[27:28]
	v_lshlrev_b32_e32 v17, 2, v17
	v_and_b32_e32 v17, 0xfc, v17
	v_and_or_b32 v17, v27, 3, v17
	s_and_b64 s[18:19], vcc, s[18:19]
	v_cndmask_b32_e64 v17, v17, 0, s[18:19]
	v_or_b32_e32 v17, v17, v0
.LBB0_384:                              ;   in Loop: Header=BB0_350 Depth=3
	s_or_b64 exec, exec, s[78:79]
                                        ; implicit-def: $vgpr0
.LBB0_385:                              ;   in Loop: Header=BB0_350 Depth=3
	s_andn2_saveexec_b64 s[18:19], s[76:77]
; %bb.386:                              ;   in Loop: Header=BB0_350 Depth=3
	v_or_b32_e32 v17, 0x7b, v0
; %bb.387:                              ;   in Loop: Header=BB0_350 Depth=3
	s_or_b64 exec, exec, s[18:19]
                                        ; implicit-def: $vgpr24
                                        ; implicit-def: $vgpr27_vgpr28
.LBB0_388:                              ;   in Loop: Header=BB0_350 Depth=3
	s_andn2_saveexec_b64 s[18:19], s[74:75]
	s_cbranch_execz .LBB0_394
; %bb.389:                              ;   in Loop: Header=BB0_350 Depth=3
	v_cmp_ne_u64_e32 vcc, 0, v[27:28]
                                        ; implicit-def: $vgpr17
	s_and_saveexec_b64 s[74:75], vcc
	s_xor_b64 s[74:75], exec, s[74:75]
; %bb.390:                              ;   in Loop: Header=BB0_350 Depth=3
	v_or_b32_sdwa v17, v24, s50 dst_sel:DWORD dst_unused:UNUSED_PAD src0_sel:BYTE_3 src1_sel:DWORD
                                        ; implicit-def: $vgpr24
; %bb.391:                              ;   in Loop: Header=BB0_350 Depth=3
	s_andn2_saveexec_b64 s[74:75], s[74:75]
; %bb.392:                              ;   in Loop: Header=BB0_350 Depth=3
	v_cmp_lt_i32_e32 vcc, -1, v24
	v_cndmask_b32_e32 v17, v49, v11, vcc
; %bb.393:                              ;   in Loop: Header=BB0_350 Depth=3
	s_or_b64 exec, exec, s[74:75]
.LBB0_394:                              ;   in Loop: Header=BB0_350 Depth=3
	s_or_b64 exec, exec, s[18:19]
	v_lshrrev_b16_e32 v27, 8, v2
	v_cmp_ne_u16_e32 vcc, 0, v27
	v_mov_b32_e32 v0, 0
	s_and_saveexec_b64 s[18:19], vcc
	s_cbranch_execz .LBB0_402
; %bb.395:                              ;   in Loop: Header=BB0_350 Depth=3
	v_cmp_ne_u16_e32 vcc, s48, v27
	v_bfrev_b32_e32 v0, 1
	s_and_saveexec_b64 s[74:75], vcc
	s_cbranch_execz .LBB0_401
; %bb.396:                              ;   in Loop: Header=BB0_350 Depth=3
	v_and_b32_e32 v0, 0x7c, v27
	v_and_b32_e32 v24, 3, v27
	v_cmp_ne_u32_e32 vcc, s39, v0
                                        ; implicit-def: $vgpr0
	s_and_saveexec_b64 s[76:77], vcc
	s_xor_b64 s[76:77], exec, s[76:77]
	s_cbranch_execz .LBB0_398
; %bb.397:                              ;   in Loop: Header=BB0_350 Depth=3
	v_ffbh_u32_e32 v37, v24
	v_min_u32_e32 v37, 32, v37
	v_mov_b32_e32 v28, v3
	v_subrev_u32_e32 v38, 29, v37
	v_bfe_u32 v0, v27, 2, 5
	v_lshlrev_b64 v[27:28], v38, v[27:28]
	v_cmp_eq_u32_e32 vcc, 0, v0
	v_and_b32_e32 v27, 3, v27
	v_sub_u32_e32 v28, 30, v37
	v_cndmask_b32_e32 v24, v24, v27, vcc
	v_lshlrev_b32_e32 v27, 16, v2
	v_cndmask_b32_e32 v0, v0, v28, vcc
	v_and_b32_e32 v27, 0x80000000, v27
	v_lshl_add_u32 v0, v0, 23, v27
	v_lshl_or_b32 v0, v24, 21, v0
	v_add_u32_e32 v0, 0x38000000, v0
                                        ; implicit-def: $vgpr24
.LBB0_398:                              ;   in Loop: Header=BB0_350 Depth=3
	s_andn2_saveexec_b64 s[76:77], s[76:77]
; %bb.399:                              ;   in Loop: Header=BB0_350 Depth=3
	v_cmp_lt_i16_e32 vcc, -1, v2
	v_cndmask_b32_e32 v0, v8, v54, vcc
	v_cmp_eq_u32_e32 vcc, 0, v24
	v_cndmask_b32_e32 v0, v55, v0, vcc
; %bb.400:                              ;   in Loop: Header=BB0_350 Depth=3
	s_or_b64 exec, exec, s[76:77]
.LBB0_401:                              ;   in Loop: Header=BB0_350 Depth=3
	s_or_b64 exec, exec, s[74:75]
.LBB0_402:                              ;   in Loop: Header=BB0_350 Depth=3
	s_or_b64 exec, exec, s[18:19]
	v_mul_f32_e32 v37, v62, v0
	v_and_b32_e32 v38, 0x7f800000, v37
	v_mov_b32_e32 v39, v3
	v_cmp_ne_u64_e32 vcc, s[56:57], v[38:39]
	v_and_b32_e32 v27, 0x7fffff, v37
	v_mov_b32_e32 v28, v3
                                        ; implicit-def: $vgpr24
	s_and_saveexec_b64 s[18:19], vcc
	s_xor_b64 s[74:75], exec, s[18:19]
	s_cbranch_execz .LBB0_416
; %bb.403:                              ;   in Loop: Header=BB0_350 Depth=3
	v_and_b32_e32 v38, 0x7fffffff, v37
	v_mov_b32_e32 v39, v3
	v_cmp_gt_u64_e32 vcc, s[58:59], v[38:39]
	v_and_b32_sdwa v0, v37, s48 dst_sel:DWORD dst_unused:UNUSED_PAD src0_sel:BYTE_3 src1_sel:DWORD
                                        ; implicit-def: $vgpr24
	s_and_saveexec_b64 s[18:19], vcc
	s_xor_b64 s[76:77], exec, s[18:19]
	s_cbranch_execz .LBB0_413
; %bb.404:                              ;   in Loop: Header=BB0_350 Depth=3
	v_mov_b32_e32 v24, 0
	v_cmp_ne_u32_e32 vcc, 0, v37
	s_and_saveexec_b64 s[78:79], vcc
	s_cbranch_execz .LBB0_412
; %bb.405:                              ;   in Loop: Header=BB0_350 Depth=3
	v_bfe_u32 v24, v37, 23, 8
	v_cmp_gt_u32_e64 s[18:19], s49, v24
	v_sub_u32_e32 v37, 0x71, v24
	v_cmp_eq_u32_e32 vcc, 0, v24
	v_cndmask_b32_e64 v37, 0, v37, s[18:19]
	v_or_b32_e32 v38, 0x800000, v27
	v_cndmask_b32_e32 v37, v37, v12, vcc
	v_cndmask_b32_e32 v27, v38, v27, vcc
	v_add_u32_e32 v38, 21, v37
	v_lshlrev_b64 v[38:39], v38, -1
	v_add_u32_e32 v42, 20, v37
	v_bfi_b32 v38, v38, 0, v27
	v_lshlrev_b64 v[42:43], v42, 1
	v_lshrrev_b64 v[27:28], v37, v[27:28]
	v_bfi_b32 v39, v39, 0, 0
	v_cmp_eq_u64_e64 s[18:19], v[38:39], v[42:43]
	v_mov_b32_e32 v43, v28
	v_mov_b32_e32 v42, v27
	s_and_saveexec_b64 s[88:89], s[18:19]
; %bb.406:                              ;   in Loop: Header=BB0_350 Depth=3
	v_bfe_u32 v28, v27, 21, 1
	v_add_co_u32_e64 v28, s[18:19], v27, v28
	v_add_co_u32_e64 v42, s[18:19], -1, v28
; %bb.407:                              ;   in Loop: Header=BB0_350 Depth=3
	s_or_b64 exec, exec, s[88:89]
	v_add_u32_e32 v24, 0xffffff81, v24
	v_cndmask_b32_e32 v24, v24, v48, vcc
	v_lshrrev_b32_e32 v28, 23, v27
	v_add3_u32 v38, v37, v24, v28
	v_add_u32_e32 v37, 14, v38
	v_and_b32_e32 v24, 0x1fffff, v42
	v_add_u32_e32 v27, v24, v27
	v_mov_b32_e32 v28, v3
	v_cmp_ne_u32_e32 vcc, 0, v37
                                        ; implicit-def: $vgpr24
	s_and_saveexec_b64 s[18:19], vcc
	s_xor_b64 s[18:19], exec, s[18:19]
; %bb.408:                              ;   in Loop: Header=BB0_350 Depth=3
	v_cmp_lt_u64_e32 vcc, s[60:61], v[27:28]
	v_add_u32_e32 v24, 15, v38
	v_cndmask_b32_e32 v24, v37, v24, vcc
	v_cndmask_b32_e64 v37, 0, 1, vcc
	v_lshrrev_b64 v[27:28], v37, v[27:28]
; %bb.409:                              ;   in Loop: Header=BB0_350 Depth=3
	s_andn2_saveexec_b64 s[18:19], s[18:19]
; %bb.410:                              ;   in Loop: Header=BB0_350 Depth=3
	v_bfe_u32 v24, v27, 23, 1
; %bb.411:                              ;   in Loop: Header=BB0_350 Depth=3
	s_or_b64 exec, exec, s[18:19]
	v_lshrrev_b64 v[27:28], 21, v[27:28]
	v_cmp_gt_i32_e32 vcc, 32, v24
	v_cndmask_b32_e32 v28, 0, v28, vcc
	v_cndmask_b32_e32 v27, 3, v27, vcc
	v_cmp_eq_u32_e32 vcc, 0, v24
	v_min_i32_e32 v24, 31, v24
	v_cmp_eq_u64_e64 s[18:19], 0, v[27:28]
	v_lshlrev_b32_e32 v24, 2, v24
	v_and_b32_e32 v24, 0xfc, v24
	v_and_or_b32 v24, v27, 3, v24
	s_and_b64 s[18:19], vcc, s[18:19]
	v_cndmask_b32_e64 v24, v24, 0, s[18:19]
	v_or_b32_e32 v24, v24, v0
.LBB0_412:                              ;   in Loop: Header=BB0_350 Depth=3
	s_or_b64 exec, exec, s[78:79]
                                        ; implicit-def: $vgpr0
.LBB0_413:                              ;   in Loop: Header=BB0_350 Depth=3
	s_andn2_saveexec_b64 s[18:19], s[76:77]
; %bb.414:                              ;   in Loop: Header=BB0_350 Depth=3
	v_or_b32_e32 v24, 0x7b, v0
; %bb.415:                              ;   in Loop: Header=BB0_350 Depth=3
	s_or_b64 exec, exec, s[18:19]
                                        ; implicit-def: $vgpr37
                                        ; implicit-def: $vgpr27_vgpr28
.LBB0_416:                              ;   in Loop: Header=BB0_350 Depth=3
	s_andn2_saveexec_b64 s[18:19], s[74:75]
	s_cbranch_execz .LBB0_422
; %bb.417:                              ;   in Loop: Header=BB0_350 Depth=3
	v_cmp_ne_u64_e32 vcc, 0, v[27:28]
                                        ; implicit-def: $vgpr24
	s_and_saveexec_b64 s[74:75], vcc
	s_xor_b64 s[74:75], exec, s[74:75]
; %bb.418:                              ;   in Loop: Header=BB0_350 Depth=3
	v_or_b32_sdwa v24, v37, s50 dst_sel:DWORD dst_unused:UNUSED_PAD src0_sel:BYTE_3 src1_sel:DWORD
                                        ; implicit-def: $vgpr37
; %bb.419:                              ;   in Loop: Header=BB0_350 Depth=3
	s_andn2_saveexec_b64 s[74:75], s[74:75]
; %bb.420:                              ;   in Loop: Header=BB0_350 Depth=3
	v_cmp_lt_i32_e32 vcc, -1, v37
	v_cndmask_b32_e32 v24, v49, v11, vcc
; %bb.421:                              ;   in Loop: Header=BB0_350 Depth=3
	s_or_b64 exec, exec, s[74:75]
.LBB0_422:                              ;   in Loop: Header=BB0_350 Depth=3
	s_or_b64 exec, exec, s[18:19]
	v_and_b32_sdwa v28, v2, s37 dst_sel:DWORD dst_unused:UNUSED_PAD src0_sel:WORD_1 src1_sel:DWORD
	v_lshrrev_b32_e32 v27, 16, v2
	v_cmp_ne_u16_e32 vcc, 0, v28
	v_mov_b32_e32 v0, 0
	s_and_saveexec_b64 s[18:19], vcc
	s_cbranch_execz .LBB0_430
; %bb.423:                              ;   in Loop: Header=BB0_350 Depth=3
	v_cmp_ne_u16_e32 vcc, s48, v28
	v_bfrev_b32_e32 v0, 1
	s_and_saveexec_b64 s[74:75], vcc
	s_cbranch_execz .LBB0_429
; %bb.424:                              ;   in Loop: Header=BB0_350 Depth=3
	v_and_b32_e32 v0, 0x7c0000, v2
	v_bfe_u32 v28, v2, 16, 2
	v_cmp_ne_u32_e32 vcc, s51, v0
                                        ; implicit-def: $vgpr0
	s_and_saveexec_b64 s[76:77], vcc
	s_xor_b64 s[76:77], exec, s[76:77]
	s_cbranch_execz .LBB0_426
; %bb.425:                              ;   in Loop: Header=BB0_350 Depth=3
	v_ffbh_u32_e32 v37, v28
	v_min_u32_e32 v39, 32, v37
	v_lshrrev_b32_e32 v0, 16, v2
	v_subrev_u32_e32 v37, 29, v39
	v_lshlrev_b64 v[37:38], v37, v[0:1]
	v_bfe_u32 v27, v2, 18, 5
	v_sub_u32_e32 v0, 30, v39
	v_and_b32_e32 v37, 3, v37
	v_cmp_eq_u32_e32 vcc, 0, v27
	v_cndmask_b32_e32 v0, v27, v0, vcc
	v_cndmask_b32_e32 v27, v28, v37, vcc
	v_lshlrev_b32_e32 v28, 8, v2
	v_and_b32_e32 v28, 0x80000000, v28
	v_lshl_add_u32 v0, v0, 23, v28
	v_lshl_or_b32 v0, v27, 21, v0
	v_add_u32_e32 v0, 0x38000000, v0
                                        ; implicit-def: $vgpr28
                                        ; implicit-def: $vgpr27
.LBB0_426:                              ;   in Loop: Header=BB0_350 Depth=3
	s_andn2_saveexec_b64 s[76:77], s[76:77]
; %bb.427:                              ;   in Loop: Header=BB0_350 Depth=3
	v_cmp_gt_i16_sdwa vcc, sext(v27), v7 src0_sel:BYTE_0 src1_sel:DWORD
	v_cndmask_b32_e32 v0, v8, v54, vcc
	v_cmp_eq_u32_e32 vcc, 0, v28
	v_cndmask_b32_e32 v0, v55, v0, vcc
; %bb.428:                              ;   in Loop: Header=BB0_350 Depth=3
	s_or_b64 exec, exec, s[76:77]
.LBB0_429:                              ;   in Loop: Header=BB0_350 Depth=3
	s_or_b64 exec, exec, s[74:75]
.LBB0_430:                              ;   in Loop: Header=BB0_350 Depth=3
	s_or_b64 exec, exec, s[18:19]
	v_mul_f32_e32 v42, v62, v0
	v_and_b32_e32 v37, 0x7f800000, v42
	v_mov_b32_e32 v38, v3
	v_cmp_ne_u64_e32 vcc, s[56:57], v[37:38]
	v_and_b32_e32 v27, 0x7fffff, v42
	v_mov_b32_e32 v28, v3
                                        ; implicit-def: $vgpr37
	s_and_saveexec_b64 s[18:19], vcc
	s_xor_b64 s[74:75], exec, s[18:19]
	s_cbranch_execz .LBB0_444
; %bb.431:                              ;   in Loop: Header=BB0_350 Depth=3
	v_and_b32_e32 v37, 0x7fffffff, v42
	v_mov_b32_e32 v38, v3
	v_cmp_gt_u64_e32 vcc, s[58:59], v[37:38]
	v_and_b32_sdwa v0, v42, s48 dst_sel:DWORD dst_unused:UNUSED_PAD src0_sel:BYTE_3 src1_sel:DWORD
                                        ; implicit-def: $vgpr37
	s_and_saveexec_b64 s[18:19], vcc
	s_xor_b64 s[76:77], exec, s[18:19]
	s_cbranch_execz .LBB0_441
; %bb.432:                              ;   in Loop: Header=BB0_350 Depth=3
	v_mov_b32_e32 v37, 0
	v_cmp_ne_u32_e32 vcc, 0, v42
	s_and_saveexec_b64 s[78:79], vcc
	s_cbranch_execz .LBB0_440
; %bb.433:                              ;   in Loop: Header=BB0_350 Depth=3
	v_bfe_u32 v37, v42, 23, 8
	v_cmp_gt_u32_e64 s[18:19], s49, v37
	v_sub_u32_e32 v38, 0x71, v37
	v_cmp_eq_u32_e32 vcc, 0, v37
	v_cndmask_b32_e64 v38, 0, v38, s[18:19]
	v_cndmask_b32_e32 v56, v38, v12, vcc
	v_or_b32_e32 v39, 0x800000, v27
	v_add_u32_e32 v38, 21, v56
	v_cndmask_b32_e32 v27, v39, v27, vcc
	v_lshlrev_b64 v[38:39], v38, -1
	v_add_u32_e32 v42, 20, v56
	v_bfi_b32 v38, v38, 0, v27
	v_lshlrev_b64 v[42:43], v42, 1
	v_lshrrev_b64 v[27:28], v56, v[27:28]
	v_bfi_b32 v39, v39, 0, 0
	v_cmp_eq_u64_e64 s[18:19], v[38:39], v[42:43]
	v_mov_b32_e32 v43, v28
	v_mov_b32_e32 v42, v27
	s_and_saveexec_b64 s[88:89], s[18:19]
; %bb.434:                              ;   in Loop: Header=BB0_350 Depth=3
	v_bfe_u32 v28, v27, 21, 1
	v_add_co_u32_e64 v28, s[18:19], v27, v28
	v_add_co_u32_e64 v42, s[18:19], -1, v28
; %bb.435:                              ;   in Loop: Header=BB0_350 Depth=3
	s_or_b64 exec, exec, s[88:89]
	v_add_u32_e32 v28, 0xffffff81, v37
	v_cndmask_b32_e32 v28, v28, v48, vcc
	v_lshrrev_b32_e32 v37, 23, v27
	v_add3_u32 v39, v56, v28, v37
	v_add_u32_e32 v38, 14, v39
	v_and_b32_e32 v28, 0x1fffff, v42
	v_add_u32_e32 v27, v28, v27
	v_mov_b32_e32 v28, v3
	v_cmp_ne_u32_e32 vcc, 0, v38
                                        ; implicit-def: $vgpr37
	s_and_saveexec_b64 s[18:19], vcc
	s_xor_b64 s[18:19], exec, s[18:19]
; %bb.436:                              ;   in Loop: Header=BB0_350 Depth=3
	v_cmp_lt_u64_e32 vcc, s[60:61], v[27:28]
	v_add_u32_e32 v37, 15, v39
	v_cndmask_b32_e32 v37, v38, v37, vcc
	v_cndmask_b32_e64 v38, 0, 1, vcc
	v_lshrrev_b64 v[27:28], v38, v[27:28]
; %bb.437:                              ;   in Loop: Header=BB0_350 Depth=3
	s_andn2_saveexec_b64 s[18:19], s[18:19]
; %bb.438:                              ;   in Loop: Header=BB0_350 Depth=3
	v_bfe_u32 v37, v27, 23, 1
; %bb.439:                              ;   in Loop: Header=BB0_350 Depth=3
	s_or_b64 exec, exec, s[18:19]
	v_lshrrev_b64 v[27:28], 21, v[27:28]
	v_cmp_gt_i32_e32 vcc, 32, v37
	v_cndmask_b32_e32 v28, 0, v28, vcc
	v_cndmask_b32_e32 v27, 3, v27, vcc
	v_cmp_eq_u64_e64 s[18:19], 0, v[27:28]
	v_min_i32_e32 v28, 31, v37
	v_lshlrev_b32_e32 v28, 2, v28
	v_cmp_eq_u32_e32 vcc, 0, v37
	v_and_b32_e32 v28, 0xfc, v28
	v_and_or_b32 v27, v27, 3, v28
	s_and_b64 s[18:19], vcc, s[18:19]
	v_cndmask_b32_e64 v27, v27, 0, s[18:19]
	v_or_b32_e32 v37, v27, v0
.LBB0_440:                              ;   in Loop: Header=BB0_350 Depth=3
	s_or_b64 exec, exec, s[78:79]
                                        ; implicit-def: $vgpr0
.LBB0_441:                              ;   in Loop: Header=BB0_350 Depth=3
	s_andn2_saveexec_b64 s[18:19], s[76:77]
; %bb.442:                              ;   in Loop: Header=BB0_350 Depth=3
	v_or_b32_e32 v37, 0x7b, v0
; %bb.443:                              ;   in Loop: Header=BB0_350 Depth=3
	s_or_b64 exec, exec, s[18:19]
                                        ; implicit-def: $vgpr42
                                        ; implicit-def: $vgpr27_vgpr28
.LBB0_444:                              ;   in Loop: Header=BB0_350 Depth=3
	s_andn2_saveexec_b64 s[18:19], s[74:75]
	s_cbranch_execz .LBB0_450
; %bb.445:                              ;   in Loop: Header=BB0_350 Depth=3
	v_cmp_ne_u64_e32 vcc, 0, v[27:28]
                                        ; implicit-def: $vgpr37
	s_and_saveexec_b64 s[74:75], vcc
	s_xor_b64 s[74:75], exec, s[74:75]
; %bb.446:                              ;   in Loop: Header=BB0_350 Depth=3
	v_or_b32_sdwa v37, v42, s50 dst_sel:DWORD dst_unused:UNUSED_PAD src0_sel:BYTE_3 src1_sel:DWORD
                                        ; implicit-def: $vgpr42
; %bb.447:                              ;   in Loop: Header=BB0_350 Depth=3
	s_andn2_saveexec_b64 s[74:75], s[74:75]
; %bb.448:                              ;   in Loop: Header=BB0_350 Depth=3
	v_cmp_lt_i32_e32 vcc, -1, v42
	v_cndmask_b32_e32 v37, v49, v11, vcc
; %bb.449:                              ;   in Loop: Header=BB0_350 Depth=3
	s_or_b64 exec, exec, s[74:75]
.LBB0_450:                              ;   in Loop: Header=BB0_350 Depth=3
	s_or_b64 exec, exec, s[18:19]
	v_cmp_lt_u32_e32 vcc, s47, v2
	v_mov_b32_e32 v27, 0
	s_and_saveexec_b64 s[18:19], vcc
	s_cbranch_execz .LBB0_458
; %bb.451:                              ;   in Loop: Header=BB0_350 Depth=3
	v_lshrrev_b32_e32 v0, 24, v2
	v_cmp_ne_u32_e32 vcc, s48, v0
	v_bfrev_b32_e32 v27, 1
	s_and_saveexec_b64 s[74:75], vcc
	s_cbranch_execz .LBB0_457
; %bb.452:                              ;   in Loop: Header=BB0_350 Depth=3
	v_and_b32_e32 v27, 0x7c000000, v2
	v_bfe_u32 v28, v2, 24, 2
	v_cmp_ne_u32_e32 vcc, s52, v27
                                        ; implicit-def: $vgpr27
	s_and_saveexec_b64 s[76:77], vcc
	s_xor_b64 s[76:77], exec, s[76:77]
	s_cbranch_execz .LBB0_454
; %bb.453:                              ;   in Loop: Header=BB0_350 Depth=3
	v_ffbh_u32_e32 v38, v28
	v_min_u32_e32 v42, 32, v38
	v_subrev_u32_e32 v38, 29, v42
	v_bfe_u32 v27, v2, 26, 5
	v_lshlrev_b64 v[38:39], v38, v[0:1]
	v_sub_u32_e32 v0, 30, v42
	v_cmp_eq_u32_e32 vcc, 0, v27
	v_and_b32_e32 v38, 3, v38
	v_cndmask_b32_e32 v0, v27, v0, vcc
	v_and_b32_e32 v2, 0x80000000, v2
	v_cndmask_b32_e32 v27, v28, v38, vcc
	v_lshl_add_u32 v0, v0, 23, v2
	v_lshl_or_b32 v0, v27, 21, v0
	v_add_u32_e32 v27, 0x38000000, v0
                                        ; implicit-def: $vgpr28
.LBB0_454:                              ;   in Loop: Header=BB0_350 Depth=3
	s_andn2_saveexec_b64 s[76:77], s[76:77]
; %bb.455:                              ;   in Loop: Header=BB0_350 Depth=3
	v_cmp_lt_i32_e32 vcc, -1, v2
	v_cndmask_b32_e32 v0, v8, v54, vcc
	v_cmp_eq_u32_e32 vcc, 0, v28
	v_cndmask_b32_e32 v27, v55, v0, vcc
; %bb.456:                              ;   in Loop: Header=BB0_350 Depth=3
	s_or_b64 exec, exec, s[76:77]
.LBB0_457:                              ;   in Loop: Header=BB0_350 Depth=3
	s_or_b64 exec, exec, s[74:75]
.LBB0_458:                              ;   in Loop: Header=BB0_350 Depth=3
	s_or_b64 exec, exec, s[18:19]
	v_mul_f32_e32 v27, v62, v27
	v_and_b32_e32 v38, 0x7f800000, v27
	v_mov_b32_e32 v39, v3
	v_cmp_ne_u64_e32 vcc, s[56:57], v[38:39]
	v_and_b32_e32 v2, 0x7fffff, v27
                                        ; implicit-def: $vgpr56
	s_and_saveexec_b64 s[18:19], vcc
	s_xor_b64 s[74:75], exec, s[18:19]
	s_cbranch_execz .LBB0_472
; %bb.459:                              ;   in Loop: Header=BB0_350 Depth=3
	v_and_b32_e32 v38, 0x7fffffff, v27
	v_mov_b32_e32 v39, v3
	v_cmp_gt_u64_e32 vcc, s[58:59], v[38:39]
	v_and_b32_sdwa v0, v27, s48 dst_sel:DWORD dst_unused:UNUSED_PAD src0_sel:BYTE_3 src1_sel:DWORD
                                        ; implicit-def: $vgpr56
	s_and_saveexec_b64 s[18:19], vcc
	s_xor_b64 s[76:77], exec, s[18:19]
	s_cbranch_execz .LBB0_469
; %bb.460:                              ;   in Loop: Header=BB0_350 Depth=3
	v_mov_b32_e32 v56, 0
	v_cmp_ne_u32_e32 vcc, 0, v27
	s_and_saveexec_b64 s[78:79], vcc
	s_cbranch_execz .LBB0_468
; %bb.461:                              ;   in Loop: Header=BB0_350 Depth=3
	v_bfe_u32 v56, v27, 23, 8
	v_cmp_gt_u32_e64 s[18:19], s49, v56
	v_sub_u32_e32 v27, 0x71, v56
	v_cmp_eq_u32_e32 vcc, 0, v56
	v_cndmask_b32_e64 v27, 0, v27, s[18:19]
	v_cndmask_b32_e32 v59, v27, v12, vcc
	v_or_b32_e32 v28, 0x800000, v2
	v_add_u32_e32 v27, 21, v59
	v_cndmask_b32_e32 v2, v28, v2, vcc
	v_lshlrev_b64 v[27:28], v27, -1
	v_add_u32_e32 v38, 20, v59
	v_lshlrev_b64 v[38:39], v38, 1
	v_bfi_b32 v28, v28, 0, 0
	v_bfi_b32 v27, v27, 0, v2
	v_cmp_eq_u64_e64 s[18:19], v[27:28], v[38:39]
	v_lshrrev_b64 v[27:28], v59, v[2:3]
	v_mov_b32_e32 v43, v28
	v_mov_b32_e32 v42, v27
	s_and_saveexec_b64 s[88:89], s[18:19]
; %bb.462:                              ;   in Loop: Header=BB0_350 Depth=3
	v_bfe_u32 v2, v27, 21, 1
	v_add_co_u32_e64 v2, s[18:19], v27, v2
	v_add_co_u32_e64 v42, s[18:19], -1, v2
; %bb.463:                              ;   in Loop: Header=BB0_350 Depth=3
	s_or_b64 exec, exec, s[88:89]
	v_add_u32_e32 v2, 0xffffff81, v56
	v_cndmask_b32_e32 v2, v2, v48, vcc
	v_lshrrev_b32_e32 v28, 23, v27
	v_add3_u32 v39, v59, v2, v28
	v_add_u32_e32 v38, 14, v39
	v_and_b32_e32 v2, 0x1fffff, v42
	v_add_u32_e32 v2, v2, v27
	v_cmp_ne_u32_e32 vcc, 0, v38
                                        ; implicit-def: $vgpr27_vgpr28
                                        ; implicit-def: $vgpr42
	s_and_saveexec_b64 s[18:19], vcc
	s_xor_b64 s[18:19], exec, s[18:19]
; %bb.464:                              ;   in Loop: Header=BB0_350 Depth=3
	v_cmp_lt_u64_e32 vcc, s[60:61], v[2:3]
	v_add_u32_e32 v27, 15, v39
	v_cndmask_b32_e32 v42, v38, v27, vcc
	v_cndmask_b32_e64 v27, 0, 1, vcc
	v_lshrrev_b64 v[27:28], v27, v[2:3]
; %bb.465:                              ;   in Loop: Header=BB0_350 Depth=3
	s_andn2_saveexec_b64 s[18:19], s[18:19]
; %bb.466:                              ;   in Loop: Header=BB0_350 Depth=3
	v_mov_b32_e32 v28, v3
	v_bfe_u32 v42, v2, 23, 1
	v_mov_b32_e32 v27, v2
; %bb.467:                              ;   in Loop: Header=BB0_350 Depth=3
	s_or_b64 exec, exec, s[18:19]
	v_lshrrev_b64 v[27:28], 21, v[27:28]
	v_cmp_gt_i32_e32 vcc, 32, v42
	v_cndmask_b32_e32 v28, 0, v28, vcc
	v_cndmask_b32_e32 v27, 3, v27, vcc
	v_min_i32_e32 v2, 31, v42
	v_cmp_eq_u64_e64 s[18:19], 0, v[27:28]
	v_lshlrev_b32_e32 v2, 2, v2
	v_cmp_eq_u32_e32 vcc, 0, v42
	v_and_b32_e32 v2, 0xfc, v2
	v_and_or_b32 v2, v27, 3, v2
	s_and_b64 s[18:19], vcc, s[18:19]
	v_cndmask_b32_e64 v2, v2, 0, s[18:19]
	v_or_b32_e32 v56, v2, v0
.LBB0_468:                              ;   in Loop: Header=BB0_350 Depth=3
	s_or_b64 exec, exec, s[78:79]
                                        ; implicit-def: $vgpr0
.LBB0_469:                              ;   in Loop: Header=BB0_350 Depth=3
	s_andn2_saveexec_b64 s[18:19], s[76:77]
; %bb.470:                              ;   in Loop: Header=BB0_350 Depth=3
	v_or_b32_e32 v56, 0x7b, v0
; %bb.471:                              ;   in Loop: Header=BB0_350 Depth=3
	s_or_b64 exec, exec, s[18:19]
                                        ; implicit-def: $vgpr27
.LBB0_472:                              ;   in Loop: Header=BB0_350 Depth=3
	s_andn2_saveexec_b64 s[18:19], s[74:75]
	s_cbranch_execz .LBB0_478
; %bb.473:                              ;   in Loop: Header=BB0_350 Depth=3
	v_cmp_ne_u64_e32 vcc, 0, v[2:3]
                                        ; implicit-def: $vgpr56
	s_and_saveexec_b64 s[74:75], vcc
	s_xor_b64 s[74:75], exec, s[74:75]
; %bb.474:                              ;   in Loop: Header=BB0_350 Depth=3
	v_or_b32_sdwa v56, v27, s50 dst_sel:DWORD dst_unused:UNUSED_PAD src0_sel:BYTE_3 src1_sel:DWORD
                                        ; implicit-def: $vgpr27
; %bb.475:                              ;   in Loop: Header=BB0_350 Depth=3
	s_andn2_saveexec_b64 s[74:75], s[74:75]
; %bb.476:                              ;   in Loop: Header=BB0_350 Depth=3
	v_cmp_lt_i32_e32 vcc, -1, v27
	v_cndmask_b32_e32 v56, v49, v11, vcc
; %bb.477:                              ;   in Loop: Header=BB0_350 Depth=3
	s_or_b64 exec, exec, s[74:75]
.LBB0_478:                              ;   in Loop: Header=BB0_350 Depth=3
	s_or_b64 exec, exec, s[18:19]
	v_alignbit_b32 v2, v23, v36, v57
	v_cmp_ne_u16_sdwa s[74:75], v2, v3 src0_sel:BYTE_0 src1_sel:DWORD
	v_mov_b32_e32 v0, 0
	s_and_saveexec_b64 s[18:19], s[74:75]
	s_cbranch_execz .LBB0_486
; %bb.479:                              ;   in Loop: Header=BB0_350 Depth=3
	v_cmp_ne_u16_sdwa s[76:77], sext(v2), s38 src0_sel:BYTE_0 src1_sel:DWORD
	v_bfrev_b32_e32 v0, 1
	s_and_saveexec_b64 s[74:75], s[76:77]
	s_cbranch_execz .LBB0_485
; %bb.480:                              ;   in Loop: Header=BB0_350 Depth=3
	v_and_b32_e32 v0, 0x7c, v2
	v_and_b32_e32 v23, 3, v2
	v_cmp_ne_u32_e32 vcc, s39, v0
                                        ; implicit-def: $vgpr0
	s_and_saveexec_b64 s[76:77], vcc
	s_xor_b64 s[76:77], exec, s[76:77]
	s_cbranch_execz .LBB0_482
; %bb.481:                              ;   in Loop: Header=BB0_350 Depth=3
	v_ffbh_u32_e32 v27, v23
	v_min_u32_e32 v36, 32, v27
	v_subrev_u32_e32 v27, 29, v36
	v_lshlrev_b64 v[27:28], v27, v[2:3]
	v_bfe_u32 v0, v2, 2, 5
	v_and_b32_e32 v27, 3, v27
	v_cmp_eq_u32_e32 vcc, 0, v0
	v_sub_u32_e32 v28, 30, v36
	v_cndmask_b32_e32 v23, v23, v27, vcc
	v_lshlrev_b32_e32 v27, 24, v2
	v_cndmask_b32_e32 v0, v0, v28, vcc
	v_and_b32_e32 v27, 0x80000000, v27
	v_lshl_add_u32 v0, v0, 23, v27
	v_lshl_or_b32 v0, v23, 21, v0
	v_add_u32_e32 v0, 0x38000000, v0
                                        ; implicit-def: $vgpr23
.LBB0_482:                              ;   in Loop: Header=BB0_350 Depth=3
	s_andn2_saveexec_b64 s[76:77], s[76:77]
; %bb.483:                              ;   in Loop: Header=BB0_350 Depth=3
	v_cmp_gt_i16_sdwa vcc, sext(v2), v7 src0_sel:BYTE_0 src1_sel:DWORD
	v_cndmask_b32_e32 v0, v8, v54, vcc
	v_cmp_eq_u32_e32 vcc, 0, v23
	v_cndmask_b32_e32 v0, v55, v0, vcc
; %bb.484:                              ;   in Loop: Header=BB0_350 Depth=3
	s_or_b64 exec, exec, s[76:77]
.LBB0_485:                              ;   in Loop: Header=BB0_350 Depth=3
	s_or_b64 exec, exec, s[74:75]
.LBB0_486:                              ;   in Loop: Header=BB0_350 Depth=3
	s_or_b64 exec, exec, s[18:19]
	v_mul_f32_e32 v23, v62, v0
	v_and_b32_e32 v38, 0x7f800000, v23
	v_mov_b32_e32 v39, v3
	v_cmp_ne_u64_e32 vcc, s[56:57], v[38:39]
	v_and_b32_e32 v27, 0x7fffff, v23
	v_mov_b32_e32 v28, v3
                                        ; implicit-def: $vgpr59
	s_and_saveexec_b64 s[18:19], vcc
	s_xor_b64 s[74:75], exec, s[18:19]
	s_cbranch_execz .LBB0_500
; %bb.487:                              ;   in Loop: Header=BB0_350 Depth=3
	v_and_b32_e32 v38, 0x7fffffff, v23
	v_mov_b32_e32 v39, v3
	v_cmp_gt_u64_e32 vcc, s[58:59], v[38:39]
	v_and_b32_sdwa v0, v23, s48 dst_sel:DWORD dst_unused:UNUSED_PAD src0_sel:BYTE_3 src1_sel:DWORD
                                        ; implicit-def: $vgpr59
	s_and_saveexec_b64 s[18:19], vcc
	s_xor_b64 s[76:77], exec, s[18:19]
	s_cbranch_execz .LBB0_497
; %bb.488:                              ;   in Loop: Header=BB0_350 Depth=3
	v_mov_b32_e32 v59, 0
	v_cmp_ne_u32_e32 vcc, 0, v23
	s_and_saveexec_b64 s[78:79], vcc
	s_cbranch_execz .LBB0_496
; %bb.489:                              ;   in Loop: Header=BB0_350 Depth=3
	v_bfe_u32 v23, v23, 23, 8
	v_cmp_gt_u32_e64 s[18:19], s49, v23
	v_sub_u32_e32 v36, 0x71, v23
	v_cmp_eq_u32_e32 vcc, 0, v23
	v_cndmask_b32_e64 v36, 0, v36, s[18:19]
	v_or_b32_e32 v38, 0x800000, v27
	v_cndmask_b32_e32 v36, v36, v12, vcc
	v_cndmask_b32_e32 v27, v38, v27, vcc
	v_add_u32_e32 v38, 21, v36
	v_lshlrev_b64 v[38:39], v38, -1
	v_add_u32_e32 v42, 20, v36
	v_bfi_b32 v38, v38, 0, v27
	v_lshlrev_b64 v[42:43], v42, 1
	v_lshrrev_b64 v[27:28], v36, v[27:28]
	v_bfi_b32 v39, v39, 0, 0
	v_cmp_eq_u64_e64 s[18:19], v[38:39], v[42:43]
	v_mov_b32_e32 v43, v28
	v_mov_b32_e32 v42, v27
	s_and_saveexec_b64 s[88:89], s[18:19]
; %bb.490:                              ;   in Loop: Header=BB0_350 Depth=3
	v_bfe_u32 v28, v27, 21, 1
	v_add_co_u32_e64 v28, s[18:19], v27, v28
	v_add_co_u32_e64 v42, s[18:19], -1, v28
; %bb.491:                              ;   in Loop: Header=BB0_350 Depth=3
	s_or_b64 exec, exec, s[88:89]
	v_add_u32_e32 v23, 0xffffff81, v23
	v_cndmask_b32_e32 v23, v23, v48, vcc
	v_lshrrev_b32_e32 v28, 23, v27
	v_add3_u32 v38, v36, v23, v28
	v_add_u32_e32 v36, 14, v38
	v_and_b32_e32 v23, 0x1fffff, v42
	v_add_u32_e32 v27, v23, v27
	v_mov_b32_e32 v28, v3
	v_cmp_ne_u32_e32 vcc, 0, v36
                                        ; implicit-def: $vgpr23
	s_and_saveexec_b64 s[18:19], vcc
	s_xor_b64 s[18:19], exec, s[18:19]
; %bb.492:                              ;   in Loop: Header=BB0_350 Depth=3
	v_cmp_lt_u64_e32 vcc, s[60:61], v[27:28]
	v_add_u32_e32 v23, 15, v38
	v_cndmask_b32_e32 v23, v36, v23, vcc
	v_cndmask_b32_e64 v36, 0, 1, vcc
	v_lshrrev_b64 v[27:28], v36, v[27:28]
; %bb.493:                              ;   in Loop: Header=BB0_350 Depth=3
	s_andn2_saveexec_b64 s[18:19], s[18:19]
; %bb.494:                              ;   in Loop: Header=BB0_350 Depth=3
	v_bfe_u32 v23, v27, 23, 1
; %bb.495:                              ;   in Loop: Header=BB0_350 Depth=3
	s_or_b64 exec, exec, s[18:19]
	v_lshrrev_b64 v[27:28], 21, v[27:28]
	v_cmp_gt_i32_e32 vcc, 32, v23
	v_cndmask_b32_e32 v28, 0, v28, vcc
	v_cndmask_b32_e32 v27, 3, v27, vcc
	v_cmp_eq_u32_e32 vcc, 0, v23
	v_min_i32_e32 v23, 31, v23
	v_cmp_eq_u64_e64 s[18:19], 0, v[27:28]
	v_lshlrev_b32_e32 v23, 2, v23
	v_and_b32_e32 v23, 0xfc, v23
	v_and_or_b32 v23, v27, 3, v23
	s_and_b64 s[18:19], vcc, s[18:19]
	v_cndmask_b32_e64 v23, v23, 0, s[18:19]
	v_or_b32_e32 v59, v23, v0
.LBB0_496:                              ;   in Loop: Header=BB0_350 Depth=3
	s_or_b64 exec, exec, s[78:79]
                                        ; implicit-def: $vgpr0
.LBB0_497:                              ;   in Loop: Header=BB0_350 Depth=3
	s_andn2_saveexec_b64 s[18:19], s[76:77]
; %bb.498:                              ;   in Loop: Header=BB0_350 Depth=3
	v_or_b32_e32 v59, 0x7b, v0
; %bb.499:                              ;   in Loop: Header=BB0_350 Depth=3
	s_or_b64 exec, exec, s[18:19]
                                        ; implicit-def: $vgpr23
                                        ; implicit-def: $vgpr27_vgpr28
.LBB0_500:                              ;   in Loop: Header=BB0_350 Depth=3
	s_andn2_saveexec_b64 s[18:19], s[74:75]
	s_cbranch_execz .LBB0_506
; %bb.501:                              ;   in Loop: Header=BB0_350 Depth=3
	v_cmp_ne_u64_e32 vcc, 0, v[27:28]
                                        ; implicit-def: $vgpr59
	s_and_saveexec_b64 s[74:75], vcc
	s_xor_b64 s[74:75], exec, s[74:75]
; %bb.502:                              ;   in Loop: Header=BB0_350 Depth=3
	v_or_b32_sdwa v59, v23, s50 dst_sel:DWORD dst_unused:UNUSED_PAD src0_sel:BYTE_3 src1_sel:DWORD
                                        ; implicit-def: $vgpr23
; %bb.503:                              ;   in Loop: Header=BB0_350 Depth=3
	s_andn2_saveexec_b64 s[74:75], s[74:75]
; %bb.504:                              ;   in Loop: Header=BB0_350 Depth=3
	v_cmp_lt_i32_e32 vcc, -1, v23
	v_cndmask_b32_e32 v59, v49, v11, vcc
; %bb.505:                              ;   in Loop: Header=BB0_350 Depth=3
	s_or_b64 exec, exec, s[74:75]
.LBB0_506:                              ;   in Loop: Header=BB0_350 Depth=3
	s_or_b64 exec, exec, s[18:19]
	v_lshrrev_b16_e32 v27, 8, v2
	v_cmp_ne_u16_e32 vcc, 0, v27
	v_mov_b32_e32 v0, 0
	s_and_saveexec_b64 s[18:19], vcc
	s_cbranch_execz .LBB0_514
; %bb.507:                              ;   in Loop: Header=BB0_350 Depth=3
	v_cmp_ne_u16_e32 vcc, s48, v27
	v_bfrev_b32_e32 v0, 1
	s_and_saveexec_b64 s[74:75], vcc
	s_cbranch_execz .LBB0_513
; %bb.508:                              ;   in Loop: Header=BB0_350 Depth=3
	v_and_b32_e32 v0, 0x7c, v27
	v_and_b32_e32 v23, 3, v27
	v_cmp_ne_u32_e32 vcc, s39, v0
                                        ; implicit-def: $vgpr0
	s_and_saveexec_b64 s[76:77], vcc
	s_xor_b64 s[76:77], exec, s[76:77]
	s_cbranch_execz .LBB0_510
; %bb.509:                              ;   in Loop: Header=BB0_350 Depth=3
	v_ffbh_u32_e32 v36, v23
	v_min_u32_e32 v36, 32, v36
	v_mov_b32_e32 v28, v3
	v_subrev_u32_e32 v38, 29, v36
	v_bfe_u32 v0, v27, 2, 5
	v_lshlrev_b64 v[27:28], v38, v[27:28]
	v_cmp_eq_u32_e32 vcc, 0, v0
	v_and_b32_e32 v27, 3, v27
	v_sub_u32_e32 v28, 30, v36
	v_cndmask_b32_e32 v23, v23, v27, vcc
	v_lshlrev_b32_e32 v27, 16, v2
	v_cndmask_b32_e32 v0, v0, v28, vcc
	v_and_b32_e32 v27, 0x80000000, v27
	v_lshl_add_u32 v0, v0, 23, v27
	v_lshl_or_b32 v0, v23, 21, v0
	v_add_u32_e32 v0, 0x38000000, v0
                                        ; implicit-def: $vgpr23
.LBB0_510:                              ;   in Loop: Header=BB0_350 Depth=3
	s_andn2_saveexec_b64 s[76:77], s[76:77]
; %bb.511:                              ;   in Loop: Header=BB0_350 Depth=3
	v_cmp_lt_i16_e32 vcc, -1, v2
	v_cndmask_b32_e32 v0, v8, v54, vcc
	v_cmp_eq_u32_e32 vcc, 0, v23
	v_cndmask_b32_e32 v0, v55, v0, vcc
; %bb.512:                              ;   in Loop: Header=BB0_350 Depth=3
	s_or_b64 exec, exec, s[76:77]
.LBB0_513:                              ;   in Loop: Header=BB0_350 Depth=3
	s_or_b64 exec, exec, s[74:75]
.LBB0_514:                              ;   in Loop: Header=BB0_350 Depth=3
	s_or_b64 exec, exec, s[18:19]
	v_mul_f32_e32 v23, v62, v0
	v_and_b32_e32 v38, 0x7f800000, v23
	v_mov_b32_e32 v39, v3
	v_cmp_ne_u64_e32 vcc, s[56:57], v[38:39]
	v_and_b32_e32 v27, 0x7fffff, v23
	v_mov_b32_e32 v28, v3
                                        ; implicit-def: $vgpr57
	s_and_saveexec_b64 s[18:19], vcc
	s_xor_b64 s[74:75], exec, s[18:19]
	s_cbranch_execz .LBB0_528
; %bb.515:                              ;   in Loop: Header=BB0_350 Depth=3
	v_and_b32_e32 v38, 0x7fffffff, v23
	v_mov_b32_e32 v39, v3
	v_cmp_gt_u64_e32 vcc, s[58:59], v[38:39]
	v_and_b32_sdwa v0, v23, s48 dst_sel:DWORD dst_unused:UNUSED_PAD src0_sel:BYTE_3 src1_sel:DWORD
                                        ; implicit-def: $vgpr57
	s_and_saveexec_b64 s[18:19], vcc
	s_xor_b64 s[76:77], exec, s[18:19]
	s_cbranch_execz .LBB0_525
; %bb.516:                              ;   in Loop: Header=BB0_350 Depth=3
	v_mov_b32_e32 v57, 0
	v_cmp_ne_u32_e32 vcc, 0, v23
	s_and_saveexec_b64 s[78:79], vcc
	s_cbranch_execz .LBB0_524
; %bb.517:                              ;   in Loop: Header=BB0_350 Depth=3
	v_bfe_u32 v23, v23, 23, 8
	v_cmp_gt_u32_e64 s[18:19], s49, v23
	v_sub_u32_e32 v36, 0x71, v23
	v_cmp_eq_u32_e32 vcc, 0, v23
	v_cndmask_b32_e64 v36, 0, v36, s[18:19]
	v_or_b32_e32 v38, 0x800000, v27
	v_cndmask_b32_e32 v36, v36, v12, vcc
	v_cndmask_b32_e32 v27, v38, v27, vcc
	v_add_u32_e32 v38, 21, v36
	v_lshlrev_b64 v[38:39], v38, -1
	v_add_u32_e32 v42, 20, v36
	v_bfi_b32 v38, v38, 0, v27
	v_lshlrev_b64 v[42:43], v42, 1
	v_lshrrev_b64 v[27:28], v36, v[27:28]
	v_bfi_b32 v39, v39, 0, 0
	v_cmp_eq_u64_e64 s[18:19], v[38:39], v[42:43]
	v_mov_b32_e32 v43, v28
	v_mov_b32_e32 v42, v27
	s_and_saveexec_b64 s[88:89], s[18:19]
; %bb.518:                              ;   in Loop: Header=BB0_350 Depth=3
	v_bfe_u32 v28, v27, 21, 1
	v_add_co_u32_e64 v28, s[18:19], v27, v28
	v_add_co_u32_e64 v42, s[18:19], -1, v28
; %bb.519:                              ;   in Loop: Header=BB0_350 Depth=3
	s_or_b64 exec, exec, s[88:89]
	v_add_u32_e32 v23, 0xffffff81, v23
	v_cndmask_b32_e32 v23, v23, v48, vcc
	v_lshrrev_b32_e32 v28, 23, v27
	v_add3_u32 v38, v36, v23, v28
	v_add_u32_e32 v36, 14, v38
	v_and_b32_e32 v23, 0x1fffff, v42
	v_add_u32_e32 v27, v23, v27
	v_mov_b32_e32 v28, v3
	v_cmp_ne_u32_e32 vcc, 0, v36
                                        ; implicit-def: $vgpr23
	s_and_saveexec_b64 s[18:19], vcc
	s_xor_b64 s[18:19], exec, s[18:19]
; %bb.520:                              ;   in Loop: Header=BB0_350 Depth=3
	v_cmp_lt_u64_e32 vcc, s[60:61], v[27:28]
	v_add_u32_e32 v23, 15, v38
	v_cndmask_b32_e32 v23, v36, v23, vcc
	v_cndmask_b32_e64 v36, 0, 1, vcc
	v_lshrrev_b64 v[27:28], v36, v[27:28]
; %bb.521:                              ;   in Loop: Header=BB0_350 Depth=3
	s_andn2_saveexec_b64 s[18:19], s[18:19]
; %bb.522:                              ;   in Loop: Header=BB0_350 Depth=3
	v_bfe_u32 v23, v27, 23, 1
; %bb.523:                              ;   in Loop: Header=BB0_350 Depth=3
	s_or_b64 exec, exec, s[18:19]
	v_lshrrev_b64 v[27:28], 21, v[27:28]
	v_cmp_gt_i32_e32 vcc, 32, v23
	v_cndmask_b32_e32 v28, 0, v28, vcc
	v_cndmask_b32_e32 v27, 3, v27, vcc
	v_cmp_eq_u32_e32 vcc, 0, v23
	v_min_i32_e32 v23, 31, v23
	v_cmp_eq_u64_e64 s[18:19], 0, v[27:28]
	v_lshlrev_b32_e32 v23, 2, v23
	v_and_b32_e32 v23, 0xfc, v23
	v_and_or_b32 v23, v27, 3, v23
	s_and_b64 s[18:19], vcc, s[18:19]
	v_cndmask_b32_e64 v23, v23, 0, s[18:19]
	v_or_b32_e32 v57, v23, v0
.LBB0_524:                              ;   in Loop: Header=BB0_350 Depth=3
	s_or_b64 exec, exec, s[78:79]
                                        ; implicit-def: $vgpr0
.LBB0_525:                              ;   in Loop: Header=BB0_350 Depth=3
	s_andn2_saveexec_b64 s[18:19], s[76:77]
; %bb.526:                              ;   in Loop: Header=BB0_350 Depth=3
	v_or_b32_e32 v57, 0x7b, v0
; %bb.527:                              ;   in Loop: Header=BB0_350 Depth=3
	s_or_b64 exec, exec, s[18:19]
                                        ; implicit-def: $vgpr23
                                        ; implicit-def: $vgpr27_vgpr28
.LBB0_528:                              ;   in Loop: Header=BB0_350 Depth=3
	s_andn2_saveexec_b64 s[18:19], s[74:75]
	s_cbranch_execz .LBB0_534
; %bb.529:                              ;   in Loop: Header=BB0_350 Depth=3
	v_cmp_ne_u64_e32 vcc, 0, v[27:28]
                                        ; implicit-def: $vgpr57
	s_and_saveexec_b64 s[74:75], vcc
	s_xor_b64 s[74:75], exec, s[74:75]
; %bb.530:                              ;   in Loop: Header=BB0_350 Depth=3
	v_or_b32_sdwa v57, v23, s50 dst_sel:DWORD dst_unused:UNUSED_PAD src0_sel:BYTE_3 src1_sel:DWORD
                                        ; implicit-def: $vgpr23
; %bb.531:                              ;   in Loop: Header=BB0_350 Depth=3
	s_andn2_saveexec_b64 s[74:75], s[74:75]
; %bb.532:                              ;   in Loop: Header=BB0_350 Depth=3
	v_cmp_lt_i32_e32 vcc, -1, v23
	v_cndmask_b32_e32 v57, v49, v11, vcc
; %bb.533:                              ;   in Loop: Header=BB0_350 Depth=3
	s_or_b64 exec, exec, s[74:75]
.LBB0_534:                              ;   in Loop: Header=BB0_350 Depth=3
	s_or_b64 exec, exec, s[18:19]
	v_and_b32_sdwa v27, v2, s37 dst_sel:DWORD dst_unused:UNUSED_PAD src0_sel:WORD_1 src1_sel:DWORD
	v_lshrrev_b32_e32 v0, 16, v2
	v_cmp_ne_u16_e32 vcc, 0, v27
	v_mov_b32_e32 v23, 0
	s_and_saveexec_b64 s[18:19], vcc
	s_cbranch_execz .LBB0_542
; %bb.535:                              ;   in Loop: Header=BB0_350 Depth=3
	v_cmp_ne_u16_e32 vcc, s48, v27
	v_bfrev_b32_e32 v23, 1
	s_and_saveexec_b64 s[74:75], vcc
	s_cbranch_execz .LBB0_541
; %bb.536:                              ;   in Loop: Header=BB0_350 Depth=3
	v_and_b32_e32 v23, 0x7c0000, v2
	v_bfe_u32 v27, v2, 16, 2
	v_cmp_ne_u32_e32 vcc, s51, v23
                                        ; implicit-def: $vgpr23
	s_and_saveexec_b64 s[76:77], vcc
	s_xor_b64 s[76:77], exec, s[76:77]
	s_cbranch_execz .LBB0_538
; %bb.537:                              ;   in Loop: Header=BB0_350 Depth=3
	v_ffbh_u32_e32 v28, v27
	v_min_u32_e32 v28, 32, v28
	v_subrev_u32_e32 v36, 29, v28
	v_lshlrev_b64 v[38:39], v36, v[0:1]
	v_bfe_u32 v23, v2, 18, 5
	v_sub_u32_e32 v0, 30, v28
	v_and_b32_e32 v28, 3, v38
	v_cmp_eq_u32_e32 vcc, 0, v23
	v_cndmask_b32_e32 v0, v23, v0, vcc
	v_cndmask_b32_e32 v23, v27, v28, vcc
	v_lshlrev_b32_e32 v27, 8, v2
	v_and_b32_e32 v27, 0x80000000, v27
	v_lshl_add_u32 v0, v0, 23, v27
	v_lshl_or_b32 v0, v23, 21, v0
	v_add_u32_e32 v23, 0x38000000, v0
                                        ; implicit-def: $vgpr27
                                        ; implicit-def: $vgpr0
.LBB0_538:                              ;   in Loop: Header=BB0_350 Depth=3
	s_andn2_saveexec_b64 s[76:77], s[76:77]
; %bb.539:                              ;   in Loop: Header=BB0_350 Depth=3
	v_cmp_gt_i16_sdwa vcc, sext(v0), v7 src0_sel:BYTE_0 src1_sel:DWORD
	v_cndmask_b32_e32 v0, v8, v54, vcc
	v_cmp_eq_u32_e32 vcc, 0, v27
	v_cndmask_b32_e32 v23, v55, v0, vcc
; %bb.540:                              ;   in Loop: Header=BB0_350 Depth=3
	s_or_b64 exec, exec, s[76:77]
.LBB0_541:                              ;   in Loop: Header=BB0_350 Depth=3
	s_or_b64 exec, exec, s[74:75]
.LBB0_542:                              ;   in Loop: Header=BB0_350 Depth=3
	s_or_b64 exec, exec, s[18:19]
	v_mul_f32_e32 v36, v62, v23
	v_and_b32_e32 v38, 0x7f800000, v36
	v_mov_b32_e32 v39, v3
	v_cmp_ne_u64_e32 vcc, s[56:57], v[38:39]
	v_and_b32_e32 v27, 0x7fffff, v36
	v_mov_b32_e32 v28, v3
                                        ; implicit-def: $vgpr23
	s_and_saveexec_b64 s[18:19], vcc
	s_xor_b64 s[74:75], exec, s[18:19]
	s_cbranch_execz .LBB0_556
; %bb.543:                              ;   in Loop: Header=BB0_350 Depth=3
	v_and_b32_e32 v38, 0x7fffffff, v36
	v_mov_b32_e32 v39, v3
	v_cmp_gt_u64_e32 vcc, s[58:59], v[38:39]
	v_and_b32_sdwa v0, v36, s48 dst_sel:DWORD dst_unused:UNUSED_PAD src0_sel:BYTE_3 src1_sel:DWORD
                                        ; implicit-def: $vgpr23
	s_and_saveexec_b64 s[18:19], vcc
	s_xor_b64 s[76:77], exec, s[18:19]
	s_cbranch_execz .LBB0_553
; %bb.544:                              ;   in Loop: Header=BB0_350 Depth=3
	v_mov_b32_e32 v23, 0
	v_cmp_ne_u32_e32 vcc, 0, v36
	s_and_saveexec_b64 s[78:79], vcc
	s_cbranch_execz .LBB0_552
; %bb.545:                              ;   in Loop: Header=BB0_350 Depth=3
	v_bfe_u32 v23, v36, 23, 8
	v_cmp_gt_u32_e64 s[18:19], s49, v23
	v_sub_u32_e32 v36, 0x71, v23
	v_cmp_eq_u32_e32 vcc, 0, v23
	v_cndmask_b32_e64 v36, 0, v36, s[18:19]
	v_or_b32_e32 v38, 0x800000, v27
	v_cndmask_b32_e32 v36, v36, v12, vcc
	v_cndmask_b32_e32 v27, v38, v27, vcc
	v_add_u32_e32 v38, 21, v36
	v_lshlrev_b64 v[38:39], v38, -1
	v_add_u32_e32 v42, 20, v36
	v_bfi_b32 v38, v38, 0, v27
	v_lshlrev_b64 v[42:43], v42, 1
	v_lshrrev_b64 v[27:28], v36, v[27:28]
	v_bfi_b32 v39, v39, 0, 0
	v_cmp_eq_u64_e64 s[18:19], v[38:39], v[42:43]
	v_mov_b32_e32 v43, v28
	v_mov_b32_e32 v42, v27
	s_and_saveexec_b64 s[88:89], s[18:19]
; %bb.546:                              ;   in Loop: Header=BB0_350 Depth=3
	v_bfe_u32 v28, v27, 21, 1
	v_add_co_u32_e64 v28, s[18:19], v27, v28
	v_add_co_u32_e64 v42, s[18:19], -1, v28
; %bb.547:                              ;   in Loop: Header=BB0_350 Depth=3
	s_or_b64 exec, exec, s[88:89]
	v_add_u32_e32 v23, 0xffffff81, v23
	v_cndmask_b32_e32 v23, v23, v48, vcc
	v_lshrrev_b32_e32 v28, 23, v27
	v_add3_u32 v38, v36, v23, v28
	v_add_u32_e32 v36, 14, v38
	v_and_b32_e32 v23, 0x1fffff, v42
	v_add_u32_e32 v27, v23, v27
	v_mov_b32_e32 v28, v3
	v_cmp_ne_u32_e32 vcc, 0, v36
                                        ; implicit-def: $vgpr23
	s_and_saveexec_b64 s[18:19], vcc
	s_xor_b64 s[18:19], exec, s[18:19]
; %bb.548:                              ;   in Loop: Header=BB0_350 Depth=3
	v_cmp_lt_u64_e32 vcc, s[60:61], v[27:28]
	v_add_u32_e32 v23, 15, v38
	v_cndmask_b32_e32 v23, v36, v23, vcc
	v_cndmask_b32_e64 v36, 0, 1, vcc
	v_lshrrev_b64 v[27:28], v36, v[27:28]
; %bb.549:                              ;   in Loop: Header=BB0_350 Depth=3
	s_andn2_saveexec_b64 s[18:19], s[18:19]
; %bb.550:                              ;   in Loop: Header=BB0_350 Depth=3
	v_bfe_u32 v23, v27, 23, 1
; %bb.551:                              ;   in Loop: Header=BB0_350 Depth=3
	s_or_b64 exec, exec, s[18:19]
	v_lshrrev_b64 v[27:28], 21, v[27:28]
	v_cmp_gt_i32_e32 vcc, 32, v23
	v_cndmask_b32_e32 v28, 0, v28, vcc
	v_cndmask_b32_e32 v27, 3, v27, vcc
	v_cmp_eq_u32_e32 vcc, 0, v23
	v_min_i32_e32 v23, 31, v23
	v_cmp_eq_u64_e64 s[18:19], 0, v[27:28]
	v_lshlrev_b32_e32 v23, 2, v23
	v_and_b32_e32 v23, 0xfc, v23
	v_and_or_b32 v23, v27, 3, v23
	s_and_b64 s[18:19], vcc, s[18:19]
	v_cndmask_b32_e64 v23, v23, 0, s[18:19]
	v_or_b32_e32 v23, v23, v0
.LBB0_552:                              ;   in Loop: Header=BB0_350 Depth=3
	s_or_b64 exec, exec, s[78:79]
                                        ; implicit-def: $vgpr0
.LBB0_553:                              ;   in Loop: Header=BB0_350 Depth=3
	s_andn2_saveexec_b64 s[18:19], s[76:77]
; %bb.554:                              ;   in Loop: Header=BB0_350 Depth=3
	v_or_b32_e32 v23, 0x7b, v0
; %bb.555:                              ;   in Loop: Header=BB0_350 Depth=3
	s_or_b64 exec, exec, s[18:19]
                                        ; implicit-def: $vgpr36
                                        ; implicit-def: $vgpr27_vgpr28
.LBB0_556:                              ;   in Loop: Header=BB0_350 Depth=3
	s_andn2_saveexec_b64 s[18:19], s[74:75]
	s_cbranch_execz .LBB0_562
; %bb.557:                              ;   in Loop: Header=BB0_350 Depth=3
	v_cmp_ne_u64_e32 vcc, 0, v[27:28]
                                        ; implicit-def: $vgpr23
	s_and_saveexec_b64 s[74:75], vcc
	s_xor_b64 s[74:75], exec, s[74:75]
; %bb.558:                              ;   in Loop: Header=BB0_350 Depth=3
	v_or_b32_sdwa v23, v36, s50 dst_sel:DWORD dst_unused:UNUSED_PAD src0_sel:BYTE_3 src1_sel:DWORD
                                        ; implicit-def: $vgpr36
; %bb.559:                              ;   in Loop: Header=BB0_350 Depth=3
	s_andn2_saveexec_b64 s[74:75], s[74:75]
; %bb.560:                              ;   in Loop: Header=BB0_350 Depth=3
	v_cmp_lt_i32_e32 vcc, -1, v36
	v_cndmask_b32_e32 v23, v49, v11, vcc
; %bb.561:                              ;   in Loop: Header=BB0_350 Depth=3
	s_or_b64 exec, exec, s[74:75]
.LBB0_562:                              ;   in Loop: Header=BB0_350 Depth=3
	s_or_b64 exec, exec, s[18:19]
	v_cmp_lt_u32_e32 vcc, s47, v2
	v_mov_b32_e32 v27, 0
	s_and_saveexec_b64 s[18:19], vcc
	s_cbranch_execz .LBB0_570
; %bb.563:                              ;   in Loop: Header=BB0_350 Depth=3
	v_lshrrev_b32_e32 v0, 24, v2
	v_cmp_ne_u32_e32 vcc, s48, v0
	v_bfrev_b32_e32 v27, 1
	s_and_saveexec_b64 s[74:75], vcc
	s_cbranch_execz .LBB0_569
; %bb.564:                              ;   in Loop: Header=BB0_350 Depth=3
	v_and_b32_e32 v27, 0x7c000000, v2
	v_bfe_u32 v28, v2, 24, 2
	v_cmp_ne_u32_e32 vcc, s52, v27
                                        ; implicit-def: $vgpr27
	s_and_saveexec_b64 s[76:77], vcc
	s_xor_b64 s[76:77], exec, s[76:77]
	s_cbranch_execz .LBB0_566
; %bb.565:                              ;   in Loop: Header=BB0_350 Depth=3
	v_ffbh_u32_e32 v36, v28
	v_min_u32_e32 v36, 32, v36
	v_subrev_u32_e32 v38, 29, v36
	v_bfe_u32 v27, v2, 26, 5
	v_lshlrev_b64 v[38:39], v38, v[0:1]
	v_sub_u32_e32 v0, 30, v36
	v_cmp_eq_u32_e32 vcc, 0, v27
	v_and_b32_e32 v36, 3, v38
	v_cndmask_b32_e32 v0, v27, v0, vcc
	v_and_b32_e32 v2, 0x80000000, v2
	v_cndmask_b32_e32 v27, v28, v36, vcc
	v_lshl_add_u32 v0, v0, 23, v2
	v_lshl_or_b32 v0, v27, 21, v0
	v_add_u32_e32 v27, 0x38000000, v0
                                        ; implicit-def: $vgpr28
.LBB0_566:                              ;   in Loop: Header=BB0_350 Depth=3
	s_andn2_saveexec_b64 s[76:77], s[76:77]
; %bb.567:                              ;   in Loop: Header=BB0_350 Depth=3
	v_cmp_lt_i32_e32 vcc, -1, v2
	v_cndmask_b32_e32 v0, v8, v54, vcc
	v_cmp_eq_u32_e32 vcc, 0, v28
	v_cndmask_b32_e32 v27, v55, v0, vcc
; %bb.568:                              ;   in Loop: Header=BB0_350 Depth=3
	s_or_b64 exec, exec, s[76:77]
.LBB0_569:                              ;   in Loop: Header=BB0_350 Depth=3
	s_or_b64 exec, exec, s[74:75]
.LBB0_570:                              ;   in Loop: Header=BB0_350 Depth=3
	s_or_b64 exec, exec, s[18:19]
	v_mul_f32_e32 v27, v62, v27
	v_and_b32_e32 v38, 0x7f800000, v27
	v_mov_b32_e32 v39, v3
	v_cmp_ne_u64_e32 vcc, s[56:57], v[38:39]
	v_and_b32_e32 v2, 0x7fffff, v27
                                        ; implicit-def: $vgpr36
	s_and_saveexec_b64 s[18:19], vcc
	s_xor_b64 s[74:75], exec, s[18:19]
	s_cbranch_execz .LBB0_584
; %bb.571:                              ;   in Loop: Header=BB0_350 Depth=3
	v_and_b32_e32 v38, 0x7fffffff, v27
	v_mov_b32_e32 v39, v3
	v_cmp_gt_u64_e32 vcc, s[58:59], v[38:39]
	v_and_b32_sdwa v0, v27, s48 dst_sel:DWORD dst_unused:UNUSED_PAD src0_sel:BYTE_3 src1_sel:DWORD
                                        ; implicit-def: $vgpr36
	s_and_saveexec_b64 s[18:19], vcc
	s_xor_b64 s[76:77], exec, s[18:19]
	s_cbranch_execz .LBB0_581
; %bb.572:                              ;   in Loop: Header=BB0_350 Depth=3
	v_mov_b32_e32 v36, 0
	v_cmp_ne_u32_e32 vcc, 0, v27
	s_and_saveexec_b64 s[78:79], vcc
	s_cbranch_execz .LBB0_580
; %bb.573:                              ;   in Loop: Header=BB0_350 Depth=3
	v_bfe_u32 v36, v27, 23, 8
	v_cmp_gt_u32_e64 s[18:19], s49, v36
	v_sub_u32_e32 v27, 0x71, v36
	v_cmp_eq_u32_e32 vcc, 0, v36
	v_cndmask_b32_e64 v27, 0, v27, s[18:19]
	v_cndmask_b32_e32 v38, v27, v12, vcc
	v_or_b32_e32 v28, 0x800000, v2
	v_add_u32_e32 v27, 21, v38
	v_cndmask_b32_e32 v2, v28, v2, vcc
	v_lshlrev_b64 v[27:28], v27, -1
	v_add_u32_e32 v39, 20, v38
	v_lshlrev_b64 v[42:43], v39, 1
	v_bfi_b32 v28, v28, 0, 0
	v_bfi_b32 v27, v27, 0, v2
	v_cmp_eq_u64_e64 s[18:19], v[27:28], v[42:43]
	v_lshrrev_b64 v[27:28], v38, v[2:3]
	v_mov_b32_e32 v43, v28
	v_mov_b32_e32 v42, v27
	s_and_saveexec_b64 s[88:89], s[18:19]
; %bb.574:                              ;   in Loop: Header=BB0_350 Depth=3
	v_bfe_u32 v2, v27, 21, 1
	v_add_co_u32_e64 v2, s[18:19], v27, v2
	v_add_co_u32_e64 v42, s[18:19], -1, v2
; %bb.575:                              ;   in Loop: Header=BB0_350 Depth=3
	s_or_b64 exec, exec, s[88:89]
	v_add_u32_e32 v2, 0xffffff81, v36
	v_cndmask_b32_e32 v2, v2, v48, vcc
	v_lshrrev_b32_e32 v28, 23, v27
	v_add3_u32 v39, v38, v2, v28
	v_add_u32_e32 v38, 14, v39
	v_and_b32_e32 v2, 0x1fffff, v42
	v_add_u32_e32 v2, v2, v27
	v_cmp_ne_u32_e32 vcc, 0, v38
                                        ; implicit-def: $vgpr27_vgpr28
                                        ; implicit-def: $vgpr36
	s_and_saveexec_b64 s[18:19], vcc
	s_xor_b64 s[18:19], exec, s[18:19]
; %bb.576:                              ;   in Loop: Header=BB0_350 Depth=3
	v_cmp_lt_u64_e32 vcc, s[60:61], v[2:3]
	v_add_u32_e32 v27, 15, v39
	v_cndmask_b32_e32 v36, v38, v27, vcc
	v_cndmask_b32_e64 v27, 0, 1, vcc
	v_lshrrev_b64 v[27:28], v27, v[2:3]
; %bb.577:                              ;   in Loop: Header=BB0_350 Depth=3
	s_andn2_saveexec_b64 s[18:19], s[18:19]
; %bb.578:                              ;   in Loop: Header=BB0_350 Depth=3
	v_mov_b32_e32 v28, v3
	v_bfe_u32 v36, v2, 23, 1
	v_mov_b32_e32 v27, v2
; %bb.579:                              ;   in Loop: Header=BB0_350 Depth=3
	s_or_b64 exec, exec, s[18:19]
	v_lshrrev_b64 v[27:28], 21, v[27:28]
	v_cmp_gt_i32_e32 vcc, 32, v36
	v_cndmask_b32_e32 v28, 0, v28, vcc
	v_cndmask_b32_e32 v27, 3, v27, vcc
	v_min_i32_e32 v2, 31, v36
	v_cmp_eq_u64_e64 s[18:19], 0, v[27:28]
	v_lshlrev_b32_e32 v2, 2, v2
	v_cmp_eq_u32_e32 vcc, 0, v36
	v_and_b32_e32 v2, 0xfc, v2
	v_and_or_b32 v2, v27, 3, v2
	s_and_b64 s[18:19], vcc, s[18:19]
	v_cndmask_b32_e64 v2, v2, 0, s[18:19]
	v_or_b32_e32 v36, v2, v0
.LBB0_580:                              ;   in Loop: Header=BB0_350 Depth=3
	s_or_b64 exec, exec, s[78:79]
                                        ; implicit-def: $vgpr0
.LBB0_581:                              ;   in Loop: Header=BB0_350 Depth=3
	s_andn2_saveexec_b64 s[18:19], s[76:77]
; %bb.582:                              ;   in Loop: Header=BB0_350 Depth=3
	v_or_b32_e32 v36, 0x7b, v0
; %bb.583:                              ;   in Loop: Header=BB0_350 Depth=3
	s_or_b64 exec, exec, s[18:19]
                                        ; implicit-def: $vgpr27
.LBB0_584:                              ;   in Loop: Header=BB0_350 Depth=3
	s_andn2_saveexec_b64 s[18:19], s[74:75]
	s_cbranch_execz .LBB0_590
; %bb.585:                              ;   in Loop: Header=BB0_350 Depth=3
	v_cmp_ne_u64_e32 vcc, 0, v[2:3]
                                        ; implicit-def: $vgpr36
	s_and_saveexec_b64 s[74:75], vcc
	s_xor_b64 s[74:75], exec, s[74:75]
; %bb.586:                              ;   in Loop: Header=BB0_350 Depth=3
	v_or_b32_sdwa v36, v27, s50 dst_sel:DWORD dst_unused:UNUSED_PAD src0_sel:BYTE_3 src1_sel:DWORD
                                        ; implicit-def: $vgpr27
; %bb.587:                              ;   in Loop: Header=BB0_350 Depth=3
	s_andn2_saveexec_b64 s[74:75], s[74:75]
; %bb.588:                              ;   in Loop: Header=BB0_350 Depth=3
	v_cmp_lt_i32_e32 vcc, -1, v27
	v_cndmask_b32_e32 v36, v49, v11, vcc
; %bb.589:                              ;   in Loop: Header=BB0_350 Depth=3
	s_or_b64 exec, exec, s[74:75]
.LBB0_590:                              ;   in Loop: Header=BB0_350 Depth=3
	s_or_b64 exec, exec, s[18:19]
	s_waitcnt vmcnt(0)
	v_cmp_ne_u16_sdwa s[74:75], v19, v3 src0_sel:BYTE_0 src1_sel:DWORD
	v_mov_b32_e32 v28, 0
	v_mov_b32_e32 v27, 0
	s_and_saveexec_b64 s[18:19], s[74:75]
	s_cbranch_execz .LBB0_598
; %bb.591:                              ;   in Loop: Header=BB0_350 Depth=3
	v_cmp_ne_u16_sdwa s[76:77], sext(v19), s38 src0_sel:BYTE_0 src1_sel:DWORD
	v_bfrev_b32_e32 v27, 1
	s_and_saveexec_b64 s[74:75], s[76:77]
	s_cbranch_execz .LBB0_597
; %bb.592:                              ;   in Loop: Header=BB0_350 Depth=3
	v_and_b32_e32 v2, 0x7c, v19
	v_and_b32_e32 v0, 3, v19
	v_cmp_ne_u32_e32 vcc, s39, v2
                                        ; implicit-def: $vgpr27
	s_and_saveexec_b64 s[76:77], vcc
	s_xor_b64 s[76:77], exec, s[76:77]
	s_cbranch_execz .LBB0_594
; %bb.593:                              ;   in Loop: Header=BB0_350 Depth=3
	v_ffbh_u32_e32 v27, v0
	v_min_u32_e32 v27, 32, v27
	v_bfe_u32 v2, v19, 2, 5
	v_subrev_u32_e32 v38, 29, v27
	v_lshlrev_b64 v[38:39], v38, v[19:20]
	v_sub_u32_e32 v20, 30, v27
	v_cmp_eq_u32_e32 vcc, 0, v2
	v_cndmask_b32_e32 v2, v2, v20, vcc
	v_lshlrev_b32_e32 v20, 24, v19
	v_and_b32_e32 v27, 3, v38
	v_and_b32_e32 v20, 0x80000000, v20
	v_cndmask_b32_e32 v0, v0, v27, vcc
	v_lshl_add_u32 v2, v2, 23, v20
	v_lshl_or_b32 v0, v0, 21, v2
	v_add_u32_e32 v27, 0x38000000, v0
                                        ; implicit-def: $vgpr0
.LBB0_594:                              ;   in Loop: Header=BB0_350 Depth=3
	s_andn2_saveexec_b64 s[76:77], s[76:77]
; %bb.595:                              ;   in Loop: Header=BB0_350 Depth=3
	v_cmp_gt_i16_sdwa vcc, sext(v19), v7 src0_sel:BYTE_0 src1_sel:DWORD
	v_cndmask_b32_e32 v2, v8, v54, vcc
	v_cmp_eq_u32_e32 vcc, 0, v0
	v_cndmask_b32_e32 v27, v55, v2, vcc
; %bb.596:                              ;   in Loop: Header=BB0_350 Depth=3
	s_or_b64 exec, exec, s[76:77]
.LBB0_597:                              ;   in Loop: Header=BB0_350 Depth=3
	s_or_b64 exec, exec, s[74:75]
.LBB0_598:                              ;   in Loop: Header=BB0_350 Depth=3
	s_or_b64 exec, exec, s[18:19]
	v_lshl_or_b32 v0, v24, 8, v17
	v_lshlrev_b32_e32 v2, 16, v37
	v_lshlrev_b32_e32 v20, 24, v56
	v_or3_b32 v2, v2, v20, v0
	v_cmp_ne_u32_e32 vcc, 0, v17
	s_and_saveexec_b64 s[74:75], vcc
	s_cbranch_execz .LBB0_606
; %bb.599:                              ;   in Loop: Header=BB0_350 Depth=3
	v_cmp_ne_u32_e32 vcc, s48, v17
	v_bfrev_b32_e32 v28, 1
	s_and_saveexec_b64 s[76:77], vcc
	s_cbranch_execz .LBB0_605
; %bb.600:                              ;   in Loop: Header=BB0_350 Depth=3
	v_and_b32_e32 v24, 0x7c, v17
	v_and_b32_e32 v20, 3, v17
	v_cmp_ne_u32_e32 vcc, s39, v24
                                        ; implicit-def: $vgpr28
	s_and_saveexec_b64 s[18:19], vcc
	s_xor_b64 s[18:19], exec, s[18:19]
	s_cbranch_execz .LBB0_602
; %bb.601:                              ;   in Loop: Header=BB0_350 Depth=3
	v_ffbh_u32_e32 v28, v20
	v_min_u32_e32 v28, 32, v28
	v_subrev_u32_e32 v37, 29, v28
	v_bfe_u32 v24, v17, 2, 5
	v_lshlrev_b64 v[37:38], v37, v[2:3]
	v_sub_u32_e32 v28, 30, v28
	v_cmp_eq_u32_e32 vcc, 0, v24
	v_lshlrev_b32_e32 v17, 24, v17
	v_and_b32_e32 v37, 3, v37
	v_cndmask_b32_e32 v24, v24, v28, vcc
	v_and_b32_e32 v17, 0x80000000, v17
	v_cndmask_b32_e32 v20, v20, v37, vcc
	v_lshl_add_u32 v17, v24, 23, v17
	v_lshl_or_b32 v17, v20, 21, v17
	v_add_u32_e32 v28, 0x38000000, v17
                                        ; implicit-def: $vgpr20
                                        ; implicit-def: $vgpr17
.LBB0_602:                              ;   in Loop: Header=BB0_350 Depth=3
	s_andn2_saveexec_b64 s[78:79], s[18:19]
; %bb.603:                              ;   in Loop: Header=BB0_350 Depth=3
	v_and_b32_e32 v17, 0x80, v17
	v_cmp_eq_u32_e64 s[18:19], 0, v17
	v_cmp_eq_u32_e32 vcc, 0, v20
	v_cndmask_b32_e64 v17, v8, v54, s[18:19]
	v_cndmask_b32_e32 v28, v55, v17, vcc
; %bb.604:                              ;   in Loop: Header=BB0_350 Depth=3
	s_or_b64 exec, exec, s[78:79]
.LBB0_605:                              ;   in Loop: Header=BB0_350 Depth=3
	s_or_b64 exec, exec, s[76:77]
.LBB0_606:                              ;   in Loop: Header=BB0_350 Depth=3
	s_or_b64 exec, exec, s[74:75]
	v_add_f32_e32 v24, v27, v28
	v_and_b32_e32 v37, 0x7f800000, v24
	v_mov_b32_e32 v38, v3
	v_cmp_ne_u64_e32 vcc, s[56:57], v[37:38]
	v_and_b32_e32 v27, 0x7fffff, v24
	v_mov_b32_e32 v28, v3
                                        ; implicit-def: $vgpr17
	s_and_saveexec_b64 s[18:19], vcc
	s_xor_b64 s[74:75], exec, s[18:19]
	s_cbranch_execz .LBB0_620
; %bb.607:                              ;   in Loop: Header=BB0_350 Depth=3
	v_and_b32_e32 v37, 0x7fffffff, v24
	v_mov_b32_e32 v38, v3
	v_cmp_gt_u64_e32 vcc, s[58:59], v[37:38]
	v_and_b32_sdwa v20, v24, s48 dst_sel:DWORD dst_unused:UNUSED_PAD src0_sel:BYTE_3 src1_sel:DWORD
                                        ; implicit-def: $vgpr17
	s_and_saveexec_b64 s[18:19], vcc
	s_xor_b64 s[76:77], exec, s[18:19]
	s_cbranch_execz .LBB0_617
; %bb.608:                              ;   in Loop: Header=BB0_350 Depth=3
	v_mov_b32_e32 v17, 0
	v_cmp_ne_u32_e32 vcc, 0, v24
	s_and_saveexec_b64 s[78:79], vcc
	s_cbranch_execz .LBB0_616
; %bb.609:                              ;   in Loop: Header=BB0_350 Depth=3
	v_bfe_u32 v17, v24, 23, 8
	v_cmp_gt_u32_e64 s[18:19], s49, v17
	v_sub_u32_e32 v24, 0x71, v17
	v_cmp_eq_u32_e32 vcc, 0, v17
	v_cndmask_b32_e64 v24, 0, v24, s[18:19]
	v_or_b32_e32 v37, 0x800000, v27
	v_cndmask_b32_e32 v24, v24, v12, vcc
	v_cndmask_b32_e32 v27, v37, v27, vcc
	v_add_u32_e32 v37, 21, v24
	v_lshlrev_b64 v[37:38], v37, -1
	v_add_u32_e32 v39, 20, v24
	v_bfi_b32 v37, v37, 0, v27
	v_lshlrev_b64 v[42:43], v39, 1
	v_lshrrev_b64 v[27:28], v24, v[27:28]
	v_bfi_b32 v38, v38, 0, 0
	v_cmp_eq_u64_e64 s[18:19], v[37:38], v[42:43]
	v_mov_b32_e32 v43, v28
	v_mov_b32_e32 v42, v27
	s_and_saveexec_b64 s[88:89], s[18:19]
; %bb.610:                              ;   in Loop: Header=BB0_350 Depth=3
	v_bfe_u32 v28, v27, 21, 1
	v_add_co_u32_e64 v28, s[18:19], v27, v28
	v_add_co_u32_e64 v42, s[18:19], -1, v28
; %bb.611:                              ;   in Loop: Header=BB0_350 Depth=3
	s_or_b64 exec, exec, s[88:89]
	v_add_u32_e32 v17, 0xffffff81, v17
	v_cndmask_b32_e32 v17, v17, v48, vcc
	v_lshrrev_b32_e32 v28, 23, v27
	v_add3_u32 v37, v24, v17, v28
	v_add_u32_e32 v24, 14, v37
	v_and_b32_e32 v17, 0x1fffff, v42
	v_add_u32_e32 v27, v17, v27
	v_mov_b32_e32 v28, v3
	v_cmp_ne_u32_e32 vcc, 0, v24
                                        ; implicit-def: $vgpr17
	s_and_saveexec_b64 s[18:19], vcc
	s_xor_b64 s[18:19], exec, s[18:19]
; %bb.612:                              ;   in Loop: Header=BB0_350 Depth=3
	v_cmp_lt_u64_e32 vcc, s[60:61], v[27:28]
	v_add_u32_e32 v17, 15, v37
	v_cndmask_b32_e32 v17, v24, v17, vcc
	v_cndmask_b32_e64 v24, 0, 1, vcc
	v_lshrrev_b64 v[27:28], v24, v[27:28]
; %bb.613:                              ;   in Loop: Header=BB0_350 Depth=3
	s_andn2_saveexec_b64 s[18:19], s[18:19]
; %bb.614:                              ;   in Loop: Header=BB0_350 Depth=3
	v_bfe_u32 v17, v27, 23, 1
; %bb.615:                              ;   in Loop: Header=BB0_350 Depth=3
	s_or_b64 exec, exec, s[18:19]
	v_lshrrev_b64 v[27:28], 21, v[27:28]
	v_cmp_gt_i32_e32 vcc, 32, v17
	v_cndmask_b32_e32 v28, 0, v28, vcc
	v_cndmask_b32_e32 v27, 3, v27, vcc
	v_cmp_eq_u32_e32 vcc, 0, v17
	v_min_i32_e32 v17, 31, v17
	v_cmp_eq_u64_e64 s[18:19], 0, v[27:28]
	v_lshlrev_b32_e32 v17, 2, v17
	v_and_b32_e32 v17, 0xfc, v17
	v_and_or_b32 v17, v27, 3, v17
	s_and_b64 s[18:19], vcc, s[18:19]
	v_cndmask_b32_e64 v17, v17, 0, s[18:19]
	v_or_b32_e32 v17, v17, v20
.LBB0_616:                              ;   in Loop: Header=BB0_350 Depth=3
	s_or_b64 exec, exec, s[78:79]
                                        ; implicit-def: $vgpr20
.LBB0_617:                              ;   in Loop: Header=BB0_350 Depth=3
	s_andn2_saveexec_b64 s[18:19], s[76:77]
; %bb.618:                              ;   in Loop: Header=BB0_350 Depth=3
	v_or_b32_e32 v17, 0x7b, v20
; %bb.619:                              ;   in Loop: Header=BB0_350 Depth=3
	s_or_b64 exec, exec, s[18:19]
                                        ; implicit-def: $vgpr24
                                        ; implicit-def: $vgpr27_vgpr28
.LBB0_620:                              ;   in Loop: Header=BB0_350 Depth=3
	s_andn2_saveexec_b64 s[18:19], s[74:75]
	s_cbranch_execz .LBB0_626
; %bb.621:                              ;   in Loop: Header=BB0_350 Depth=3
	v_cmp_ne_u64_e32 vcc, 0, v[27:28]
                                        ; implicit-def: $vgpr17
	s_and_saveexec_b64 s[74:75], vcc
	s_xor_b64 s[74:75], exec, s[74:75]
; %bb.622:                              ;   in Loop: Header=BB0_350 Depth=3
	v_or_b32_sdwa v17, v24, s50 dst_sel:DWORD dst_unused:UNUSED_PAD src0_sel:BYTE_3 src1_sel:DWORD
                                        ; implicit-def: $vgpr24
; %bb.623:                              ;   in Loop: Header=BB0_350 Depth=3
	s_andn2_saveexec_b64 s[74:75], s[74:75]
; %bb.624:                              ;   in Loop: Header=BB0_350 Depth=3
	v_cmp_lt_i32_e32 vcc, -1, v24
	v_cndmask_b32_e32 v17, v49, v11, vcc
; %bb.625:                              ;   in Loop: Header=BB0_350 Depth=3
	s_or_b64 exec, exec, s[74:75]
.LBB0_626:                              ;   in Loop: Header=BB0_350 Depth=3
	s_or_b64 exec, exec, s[18:19]
	v_lshrrev_b16_e32 v27, 8, v19
	v_cmp_ne_u16_e32 vcc, 0, v27
	v_mov_b32_e32 v20, 0
	v_mov_b32_e32 v24, 0
	s_and_saveexec_b64 s[18:19], vcc
	s_cbranch_execz .LBB0_634
; %bb.627:                              ;   in Loop: Header=BB0_350 Depth=3
	v_cmp_ne_u16_e32 vcc, s48, v27
	v_bfrev_b32_e32 v24, 1
	s_and_saveexec_b64 s[74:75], vcc
	s_cbranch_execz .LBB0_633
; %bb.628:                              ;   in Loop: Header=BB0_350 Depth=3
	v_and_b32_e32 v24, 0x7c, v27
	v_and_b32_e32 v37, 3, v27
	v_cmp_ne_u32_e32 vcc, s39, v24
                                        ; implicit-def: $vgpr24
	s_and_saveexec_b64 s[76:77], vcc
	s_xor_b64 s[76:77], exec, s[76:77]
	s_cbranch_execz .LBB0_630
; %bb.629:                              ;   in Loop: Header=BB0_350 Depth=3
	v_ffbh_u32_e32 v38, v37
	v_min_u32_e32 v38, 32, v38
	v_mov_b32_e32 v28, v3
	v_subrev_u32_e32 v39, 29, v38
	v_bfe_u32 v24, v27, 2, 5
	v_lshlrev_b64 v[27:28], v39, v[27:28]
	v_sub_u32_e32 v28, 30, v38
	v_cmp_eq_u32_e32 vcc, 0, v24
	v_cndmask_b32_e32 v24, v24, v28, vcc
	v_lshlrev_b32_e32 v28, 16, v19
	v_and_b32_e32 v27, 3, v27
	v_and_b32_e32 v28, 0x80000000, v28
	v_cndmask_b32_e32 v27, v37, v27, vcc
	v_lshl_add_u32 v24, v24, 23, v28
	v_lshl_or_b32 v24, v27, 21, v24
	v_add_u32_e32 v24, 0x38000000, v24
                                        ; implicit-def: $vgpr37
.LBB0_630:                              ;   in Loop: Header=BB0_350 Depth=3
	s_andn2_saveexec_b64 s[76:77], s[76:77]
; %bb.631:                              ;   in Loop: Header=BB0_350 Depth=3
	v_cmp_lt_i16_e32 vcc, -1, v19
	v_cndmask_b32_e32 v24, v8, v54, vcc
	v_cmp_eq_u32_e32 vcc, 0, v37
	v_cndmask_b32_e32 v24, v55, v24, vcc
; %bb.632:                              ;   in Loop: Header=BB0_350 Depth=3
	s_or_b64 exec, exec, s[76:77]
.LBB0_633:                              ;   in Loop: Header=BB0_350 Depth=3
	s_or_b64 exec, exec, s[74:75]
.LBB0_634:                              ;   in Loop: Header=BB0_350 Depth=3
	s_or_b64 exec, exec, s[18:19]
	v_lshrrev_b16_e32 v27, 8, v0
	v_cmp_ne_u16_e32 vcc, 0, v27
	s_and_saveexec_b64 s[18:19], vcc
	s_cbranch_execz .LBB0_642
; %bb.635:                              ;   in Loop: Header=BB0_350 Depth=3
	v_cmp_ne_u16_e32 vcc, s48, v27
	v_bfrev_b32_e32 v20, 1
	s_and_saveexec_b64 s[74:75], vcc
	s_cbranch_execz .LBB0_641
; %bb.636:                              ;   in Loop: Header=BB0_350 Depth=3
	v_and_b32_e32 v20, 0x7c, v27
	v_and_b32_e32 v37, 3, v27
	v_cmp_ne_u32_e32 vcc, s39, v20
                                        ; implicit-def: $vgpr20
	s_and_saveexec_b64 s[76:77], vcc
	s_xor_b64 s[76:77], exec, s[76:77]
	s_cbranch_execz .LBB0_638
; %bb.637:                              ;   in Loop: Header=BB0_350 Depth=3
	v_ffbh_u32_e32 v38, v37
	v_min_u32_e32 v38, 32, v38
	v_mov_b32_e32 v28, v3
	v_subrev_u32_e32 v39, 29, v38
	v_bfe_u32 v20, v27, 2, 5
	v_lshlrev_b64 v[27:28], v39, v[27:28]
	v_sub_u32_e32 v28, 30, v38
	v_cmp_eq_u32_e32 vcc, 0, v20
	v_lshlrev_b32_e32 v0, 16, v0
	v_and_b32_e32 v27, 3, v27
	v_cndmask_b32_e32 v20, v20, v28, vcc
	v_and_b32_e32 v0, 0x80000000, v0
	v_cndmask_b32_e32 v27, v37, v27, vcc
	v_lshl_add_u32 v0, v20, 23, v0
	v_lshl_or_b32 v0, v27, 21, v0
	v_add_u32_e32 v20, 0x38000000, v0
                                        ; implicit-def: $vgpr37
                                        ; implicit-def: $vgpr0
.LBB0_638:                              ;   in Loop: Header=BB0_350 Depth=3
	s_andn2_saveexec_b64 s[76:77], s[76:77]
; %bb.639:                              ;   in Loop: Header=BB0_350 Depth=3
	v_cmp_lt_i16_e32 vcc, -1, v0
	v_cndmask_b32_e32 v0, v8, v54, vcc
	v_cmp_eq_u32_e32 vcc, 0, v37
	v_cndmask_b32_e32 v20, v55, v0, vcc
; %bb.640:                              ;   in Loop: Header=BB0_350 Depth=3
	s_or_b64 exec, exec, s[76:77]
.LBB0_641:                              ;   in Loop: Header=BB0_350 Depth=3
	s_or_b64 exec, exec, s[74:75]
.LBB0_642:                              ;   in Loop: Header=BB0_350 Depth=3
	s_or_b64 exec, exec, s[18:19]
	v_add_f32_e32 v20, v24, v20
	v_and_b32_e32 v37, 0x7f800000, v20
	v_mov_b32_e32 v38, v3
	v_cmp_ne_u64_e32 vcc, s[56:57], v[37:38]
	v_and_b32_e32 v27, 0x7fffff, v20
	v_mov_b32_e32 v28, v3
                                        ; implicit-def: $vgpr56
	s_and_saveexec_b64 s[18:19], vcc
	s_xor_b64 s[74:75], exec, s[18:19]
	s_cbranch_execz .LBB0_656
; %bb.643:                              ;   in Loop: Header=BB0_350 Depth=3
	v_and_b32_e32 v37, 0x7fffffff, v20
	v_mov_b32_e32 v38, v3
	v_cmp_gt_u64_e32 vcc, s[58:59], v[37:38]
	v_and_b32_sdwa v0, v20, s48 dst_sel:DWORD dst_unused:UNUSED_PAD src0_sel:BYTE_3 src1_sel:DWORD
                                        ; implicit-def: $vgpr56
	s_and_saveexec_b64 s[18:19], vcc
	s_xor_b64 s[76:77], exec, s[18:19]
	s_cbranch_execz .LBB0_653
; %bb.644:                              ;   in Loop: Header=BB0_350 Depth=3
	v_mov_b32_e32 v56, 0
	v_cmp_ne_u32_e32 vcc, 0, v20
	s_and_saveexec_b64 s[78:79], vcc
	s_cbranch_execz .LBB0_652
; %bb.645:                              ;   in Loop: Header=BB0_350 Depth=3
	v_bfe_u32 v20, v20, 23, 8
	v_cmp_gt_u32_e64 s[18:19], s49, v20
	v_sub_u32_e32 v24, 0x71, v20
	v_cmp_eq_u32_e32 vcc, 0, v20
	v_cndmask_b32_e64 v24, 0, v24, s[18:19]
	v_or_b32_e32 v37, 0x800000, v27
	v_cndmask_b32_e32 v24, v24, v12, vcc
	v_cndmask_b32_e32 v27, v37, v27, vcc
	v_add_u32_e32 v37, 21, v24
	v_lshlrev_b64 v[37:38], v37, -1
	v_add_u32_e32 v39, 20, v24
	v_bfi_b32 v37, v37, 0, v27
	v_lshlrev_b64 v[42:43], v39, 1
	v_lshrrev_b64 v[27:28], v24, v[27:28]
	v_bfi_b32 v38, v38, 0, 0
	v_cmp_eq_u64_e64 s[18:19], v[37:38], v[42:43]
	v_mov_b32_e32 v43, v28
	v_mov_b32_e32 v42, v27
	s_and_saveexec_b64 s[88:89], s[18:19]
; %bb.646:                              ;   in Loop: Header=BB0_350 Depth=3
	v_bfe_u32 v28, v27, 21, 1
	v_add_co_u32_e64 v28, s[18:19], v27, v28
	v_add_co_u32_e64 v42, s[18:19], -1, v28
; %bb.647:                              ;   in Loop: Header=BB0_350 Depth=3
	s_or_b64 exec, exec, s[88:89]
	v_add_u32_e32 v20, 0xffffff81, v20
	v_cndmask_b32_e32 v20, v20, v48, vcc
	v_lshrrev_b32_e32 v28, 23, v27
	v_add3_u32 v37, v24, v20, v28
	v_add_u32_e32 v24, 14, v37
	v_and_b32_e32 v20, 0x1fffff, v42
	v_add_u32_e32 v27, v20, v27
	v_mov_b32_e32 v28, v3
	v_cmp_ne_u32_e32 vcc, 0, v24
                                        ; implicit-def: $vgpr20
	s_and_saveexec_b64 s[18:19], vcc
	s_xor_b64 s[18:19], exec, s[18:19]
; %bb.648:                              ;   in Loop: Header=BB0_350 Depth=3
	v_cmp_lt_u64_e32 vcc, s[60:61], v[27:28]
	v_add_u32_e32 v20, 15, v37
	v_cndmask_b32_e32 v20, v24, v20, vcc
	v_cndmask_b32_e64 v24, 0, 1, vcc
	v_lshrrev_b64 v[27:28], v24, v[27:28]
; %bb.649:                              ;   in Loop: Header=BB0_350 Depth=3
	s_andn2_saveexec_b64 s[18:19], s[18:19]
; %bb.650:                              ;   in Loop: Header=BB0_350 Depth=3
	v_bfe_u32 v20, v27, 23, 1
; %bb.651:                              ;   in Loop: Header=BB0_350 Depth=3
	s_or_b64 exec, exec, s[18:19]
	v_lshrrev_b64 v[27:28], 21, v[27:28]
	v_cmp_gt_i32_e32 vcc, 32, v20
	v_cndmask_b32_e32 v28, 0, v28, vcc
	v_cndmask_b32_e32 v27, 3, v27, vcc
	v_cmp_eq_u32_e32 vcc, 0, v20
	v_min_i32_e32 v20, 31, v20
	v_cmp_eq_u64_e64 s[18:19], 0, v[27:28]
	v_lshlrev_b32_e32 v20, 2, v20
	v_and_b32_e32 v20, 0xfc, v20
	v_and_or_b32 v20, v27, 3, v20
	s_and_b64 s[18:19], vcc, s[18:19]
	v_cndmask_b32_e64 v20, v20, 0, s[18:19]
	v_or_b32_e32 v56, v20, v0
.LBB0_652:                              ;   in Loop: Header=BB0_350 Depth=3
	s_or_b64 exec, exec, s[78:79]
                                        ; implicit-def: $vgpr0
.LBB0_653:                              ;   in Loop: Header=BB0_350 Depth=3
	s_andn2_saveexec_b64 s[18:19], s[76:77]
; %bb.654:                              ;   in Loop: Header=BB0_350 Depth=3
	v_or_b32_e32 v56, 0x7b, v0
; %bb.655:                              ;   in Loop: Header=BB0_350 Depth=3
	s_or_b64 exec, exec, s[18:19]
                                        ; implicit-def: $vgpr20
                                        ; implicit-def: $vgpr27_vgpr28
.LBB0_656:                              ;   in Loop: Header=BB0_350 Depth=3
	s_andn2_saveexec_b64 s[18:19], s[74:75]
	s_cbranch_execz .LBB0_662
; %bb.657:                              ;   in Loop: Header=BB0_350 Depth=3
	v_cmp_ne_u64_e32 vcc, 0, v[27:28]
                                        ; implicit-def: $vgpr56
	s_and_saveexec_b64 s[74:75], vcc
	s_xor_b64 s[74:75], exec, s[74:75]
; %bb.658:                              ;   in Loop: Header=BB0_350 Depth=3
	v_or_b32_sdwa v56, v20, s50 dst_sel:DWORD dst_unused:UNUSED_PAD src0_sel:BYTE_3 src1_sel:DWORD
                                        ; implicit-def: $vgpr20
; %bb.659:                              ;   in Loop: Header=BB0_350 Depth=3
	s_andn2_saveexec_b64 s[74:75], s[74:75]
; %bb.660:                              ;   in Loop: Header=BB0_350 Depth=3
	v_cmp_lt_i32_e32 vcc, -1, v20
	v_cndmask_b32_e32 v56, v49, v11, vcc
; %bb.661:                              ;   in Loop: Header=BB0_350 Depth=3
	s_or_b64 exec, exec, s[74:75]
.LBB0_662:                              ;   in Loop: Header=BB0_350 Depth=3
	s_or_b64 exec, exec, s[18:19]
	v_lshrrev_b32_e32 v0, 16, v19
	v_cmp_ne_u16_sdwa s[74:75], v0, v3 src0_sel:BYTE_0 src1_sel:DWORD
	v_mov_b32_e32 v24, 0
	v_mov_b32_e32 v20, 0
	s_and_saveexec_b64 s[18:19], s[74:75]
	s_cbranch_execz .LBB0_670
; %bb.663:                              ;   in Loop: Header=BB0_350 Depth=3
	v_cmp_ne_u16_sdwa s[76:77], v0, s48 src0_sel:BYTE_0 src1_sel:DWORD
	v_bfrev_b32_e32 v20, 1
	s_and_saveexec_b64 s[74:75], s[76:77]
	s_cbranch_execz .LBB0_669
; %bb.664:                              ;   in Loop: Header=BB0_350 Depth=3
	v_and_b32_e32 v20, 0x7c0000, v19
	v_bfe_u32 v27, v19, 16, 2
	v_cmp_ne_u32_e32 vcc, s51, v20
                                        ; implicit-def: $vgpr20
	s_and_saveexec_b64 s[76:77], vcc
	s_xor_b64 s[76:77], exec, s[76:77]
	s_cbranch_execz .LBB0_666
; %bb.665:                              ;   in Loop: Header=BB0_350 Depth=3
	v_ffbh_u32_e32 v28, v27
	v_min_u32_e32 v28, 32, v28
	v_subrev_u32_e32 v37, 29, v28
	v_lshlrev_b64 v[37:38], v37, v[0:1]
	v_bfe_u32 v20, v19, 18, 5
	v_sub_u32_e32 v0, 30, v28
	v_and_b32_e32 v28, 3, v37
	v_cmp_eq_u32_e32 vcc, 0, v20
	v_cndmask_b32_e32 v0, v20, v0, vcc
	v_cndmask_b32_e32 v20, v27, v28, vcc
	v_lshlrev_b32_e32 v27, 8, v19
	v_and_b32_e32 v27, 0x80000000, v27
	v_lshl_add_u32 v0, v0, 23, v27
	v_lshl_or_b32 v0, v20, 21, v0
	v_add_u32_e32 v20, 0x38000000, v0
                                        ; implicit-def: $vgpr27
                                        ; implicit-def: $vgpr0
.LBB0_666:                              ;   in Loop: Header=BB0_350 Depth=3
	s_andn2_saveexec_b64 s[76:77], s[76:77]
; %bb.667:                              ;   in Loop: Header=BB0_350 Depth=3
	v_cmp_gt_i16_sdwa vcc, sext(v0), v7 src0_sel:BYTE_0 src1_sel:DWORD
	v_cndmask_b32_e32 v0, v8, v54, vcc
	v_cmp_eq_u32_e32 vcc, 0, v27
	v_cndmask_b32_e32 v20, v55, v0, vcc
; %bb.668:                              ;   in Loop: Header=BB0_350 Depth=3
	s_or_b64 exec, exec, s[76:77]
.LBB0_669:                              ;   in Loop: Header=BB0_350 Depth=3
	s_or_b64 exec, exec, s[74:75]
.LBB0_670:                              ;   in Loop: Header=BB0_350 Depth=3
	s_or_b64 exec, exec, s[18:19]
	v_and_b32_sdwa v27, v2, s37 dst_sel:DWORD dst_unused:UNUSED_PAD src0_sel:WORD_1 src1_sel:DWORD
	v_lshrrev_b32_e32 v0, 16, v2
	v_cmp_ne_u16_e32 vcc, 0, v27
	s_and_saveexec_b64 s[18:19], vcc
	s_cbranch_execz .LBB0_678
; %bb.671:                              ;   in Loop: Header=BB0_350 Depth=3
	v_cmp_ne_u16_e32 vcc, s48, v27
	v_bfrev_b32_e32 v24, 1
	s_and_saveexec_b64 s[74:75], vcc
	s_cbranch_execz .LBB0_677
; %bb.672:                              ;   in Loop: Header=BB0_350 Depth=3
	v_and_b32_e32 v24, 0x7c0000, v2
	v_bfe_u32 v27, v2, 16, 2
	v_cmp_ne_u32_e32 vcc, s51, v24
                                        ; implicit-def: $vgpr24
	s_and_saveexec_b64 s[76:77], vcc
	s_xor_b64 s[76:77], exec, s[76:77]
	s_cbranch_execz .LBB0_674
; %bb.673:                              ;   in Loop: Header=BB0_350 Depth=3
	v_ffbh_u32_e32 v28, v27
	v_min_u32_e32 v28, 32, v28
	v_lshrrev_b32_e32 v0, 16, v2
	v_subrev_u32_e32 v37, 29, v28
	v_lshlrev_b64 v[37:38], v37, v[0:1]
	v_bfe_u32 v24, v2, 18, 5
	v_sub_u32_e32 v0, 30, v28
	v_and_b32_e32 v28, 3, v37
	v_cmp_eq_u32_e32 vcc, 0, v24
	v_cndmask_b32_e32 v0, v24, v0, vcc
	v_cndmask_b32_e32 v24, v27, v28, vcc
	v_lshlrev_b32_e32 v27, 8, v2
	v_and_b32_e32 v27, 0x80000000, v27
	v_lshl_add_u32 v0, v0, 23, v27
	v_lshl_or_b32 v0, v24, 21, v0
	v_add_u32_e32 v24, 0x38000000, v0
                                        ; implicit-def: $vgpr27
                                        ; implicit-def: $vgpr0
.LBB0_674:                              ;   in Loop: Header=BB0_350 Depth=3
	s_andn2_saveexec_b64 s[76:77], s[76:77]
; %bb.675:                              ;   in Loop: Header=BB0_350 Depth=3
	v_cmp_gt_i16_sdwa vcc, sext(v0), v7 src0_sel:BYTE_0 src1_sel:DWORD
	v_cndmask_b32_e32 v0, v8, v54, vcc
	v_cmp_eq_u32_e32 vcc, 0, v27
	v_cndmask_b32_e32 v24, v55, v0, vcc
; %bb.676:                              ;   in Loop: Header=BB0_350 Depth=3
	s_or_b64 exec, exec, s[76:77]
.LBB0_677:                              ;   in Loop: Header=BB0_350 Depth=3
	s_or_b64 exec, exec, s[74:75]
.LBB0_678:                              ;   in Loop: Header=BB0_350 Depth=3
	s_or_b64 exec, exec, s[18:19]
	v_add_f32_e32 v20, v20, v24
	v_and_b32_e32 v37, 0x7f800000, v20
	v_mov_b32_e32 v38, v3
	v_cmp_ne_u64_e32 vcc, s[56:57], v[37:38]
	v_and_b32_e32 v27, 0x7fffff, v20
	v_mov_b32_e32 v28, v3
                                        ; implicit-def: $vgpr42
	s_and_saveexec_b64 s[18:19], vcc
	s_xor_b64 s[74:75], exec, s[18:19]
	s_cbranch_execz .LBB0_692
; %bb.679:                              ;   in Loop: Header=BB0_350 Depth=3
	v_and_b32_e32 v37, 0x7fffffff, v20
	v_mov_b32_e32 v38, v3
	v_cmp_gt_u64_e32 vcc, s[58:59], v[37:38]
	v_and_b32_sdwa v0, v20, s48 dst_sel:DWORD dst_unused:UNUSED_PAD src0_sel:BYTE_3 src1_sel:DWORD
                                        ; implicit-def: $vgpr42
	s_and_saveexec_b64 s[18:19], vcc
	s_xor_b64 s[76:77], exec, s[18:19]
	s_cbranch_execz .LBB0_689
; %bb.680:                              ;   in Loop: Header=BB0_350 Depth=3
	v_mov_b32_e32 v42, 0
	v_cmp_ne_u32_e32 vcc, 0, v20
	s_and_saveexec_b64 s[78:79], vcc
	s_cbranch_execz .LBB0_688
; %bb.681:                              ;   in Loop: Header=BB0_350 Depth=3
	v_bfe_u32 v20, v20, 23, 8
	v_cmp_gt_u32_e64 s[18:19], s49, v20
	v_sub_u32_e32 v24, 0x71, v20
	v_cmp_eq_u32_e32 vcc, 0, v20
	v_cndmask_b32_e64 v24, 0, v24, s[18:19]
	v_or_b32_e32 v37, 0x800000, v27
	v_cndmask_b32_e32 v24, v24, v12, vcc
	v_cndmask_b32_e32 v27, v37, v27, vcc
	v_add_u32_e32 v37, 21, v24
	v_lshlrev_b64 v[37:38], v37, -1
	v_add_u32_e32 v39, 20, v24
	v_bfi_b32 v37, v37, 0, v27
	v_lshlrev_b64 v[42:43], v39, 1
	v_lshrrev_b64 v[27:28], v24, v[27:28]
	v_bfi_b32 v38, v38, 0, 0
	v_cmp_eq_u64_e64 s[18:19], v[37:38], v[42:43]
	v_mov_b32_e32 v43, v28
	v_mov_b32_e32 v42, v27
	s_and_saveexec_b64 s[88:89], s[18:19]
; %bb.682:                              ;   in Loop: Header=BB0_350 Depth=3
	v_bfe_u32 v28, v27, 21, 1
	v_add_co_u32_e64 v28, s[18:19], v27, v28
	v_add_co_u32_e64 v42, s[18:19], -1, v28
; %bb.683:                              ;   in Loop: Header=BB0_350 Depth=3
	s_or_b64 exec, exec, s[88:89]
	v_add_u32_e32 v20, 0xffffff81, v20
	v_cndmask_b32_e32 v20, v20, v48, vcc
	v_lshrrev_b32_e32 v28, 23, v27
	v_add3_u32 v37, v24, v20, v28
	v_add_u32_e32 v24, 14, v37
	v_and_b32_e32 v20, 0x1fffff, v42
	v_add_u32_e32 v27, v20, v27
	v_mov_b32_e32 v28, v3
	v_cmp_ne_u32_e32 vcc, 0, v24
                                        ; implicit-def: $vgpr20
	s_and_saveexec_b64 s[18:19], vcc
	s_xor_b64 s[18:19], exec, s[18:19]
; %bb.684:                              ;   in Loop: Header=BB0_350 Depth=3
	v_cmp_lt_u64_e32 vcc, s[60:61], v[27:28]
	v_add_u32_e32 v20, 15, v37
	v_cndmask_b32_e32 v20, v24, v20, vcc
	v_cndmask_b32_e64 v24, 0, 1, vcc
	v_lshrrev_b64 v[27:28], v24, v[27:28]
; %bb.685:                              ;   in Loop: Header=BB0_350 Depth=3
	s_andn2_saveexec_b64 s[18:19], s[18:19]
; %bb.686:                              ;   in Loop: Header=BB0_350 Depth=3
	v_bfe_u32 v20, v27, 23, 1
; %bb.687:                              ;   in Loop: Header=BB0_350 Depth=3
	s_or_b64 exec, exec, s[18:19]
	v_lshrrev_b64 v[27:28], 21, v[27:28]
	v_cmp_gt_i32_e32 vcc, 32, v20
	v_cndmask_b32_e32 v28, 0, v28, vcc
	v_cndmask_b32_e32 v27, 3, v27, vcc
	v_cmp_eq_u32_e32 vcc, 0, v20
	v_min_i32_e32 v20, 31, v20
	v_cmp_eq_u64_e64 s[18:19], 0, v[27:28]
	v_lshlrev_b32_e32 v20, 2, v20
	v_and_b32_e32 v20, 0xfc, v20
	v_and_or_b32 v20, v27, 3, v20
	s_and_b64 s[18:19], vcc, s[18:19]
	v_cndmask_b32_e64 v20, v20, 0, s[18:19]
	v_or_b32_e32 v42, v20, v0
.LBB0_688:                              ;   in Loop: Header=BB0_350 Depth=3
	s_or_b64 exec, exec, s[78:79]
                                        ; implicit-def: $vgpr0
.LBB0_689:                              ;   in Loop: Header=BB0_350 Depth=3
	s_andn2_saveexec_b64 s[18:19], s[76:77]
; %bb.690:                              ;   in Loop: Header=BB0_350 Depth=3
	v_or_b32_e32 v42, 0x7b, v0
; %bb.691:                              ;   in Loop: Header=BB0_350 Depth=3
	s_or_b64 exec, exec, s[18:19]
                                        ; implicit-def: $vgpr20
                                        ; implicit-def: $vgpr27_vgpr28
.LBB0_692:                              ;   in Loop: Header=BB0_350 Depth=3
	s_andn2_saveexec_b64 s[18:19], s[74:75]
	s_cbranch_execz .LBB0_698
; %bb.693:                              ;   in Loop: Header=BB0_350 Depth=3
	v_cmp_ne_u64_e32 vcc, 0, v[27:28]
                                        ; implicit-def: $vgpr42
	s_and_saveexec_b64 s[74:75], vcc
	s_xor_b64 s[74:75], exec, s[74:75]
; %bb.694:                              ;   in Loop: Header=BB0_350 Depth=3
	v_or_b32_sdwa v42, v20, s50 dst_sel:DWORD dst_unused:UNUSED_PAD src0_sel:BYTE_3 src1_sel:DWORD
                                        ; implicit-def: $vgpr20
; %bb.695:                              ;   in Loop: Header=BB0_350 Depth=3
	s_andn2_saveexec_b64 s[74:75], s[74:75]
; %bb.696:                              ;   in Loop: Header=BB0_350 Depth=3
	v_cmp_lt_i32_e32 vcc, -1, v20
	v_cndmask_b32_e32 v42, v49, v11, vcc
; %bb.697:                              ;   in Loop: Header=BB0_350 Depth=3
	s_or_b64 exec, exec, s[74:75]
.LBB0_698:                              ;   in Loop: Header=BB0_350 Depth=3
	s_or_b64 exec, exec, s[18:19]
	v_cmp_lt_u32_e32 vcc, s47, v19
	v_mov_b32_e32 v20, 0
	v_mov_b32_e32 v24, 0
	s_and_saveexec_b64 s[18:19], vcc
	s_cbranch_execz .LBB0_706
; %bb.699:                              ;   in Loop: Header=BB0_350 Depth=3
	v_lshrrev_b32_e32 v0, 24, v19
	v_cmp_ne_u32_e32 vcc, s48, v0
	v_bfrev_b32_e32 v24, 1
	s_and_saveexec_b64 s[74:75], vcc
	s_cbranch_execz .LBB0_705
; %bb.700:                              ;   in Loop: Header=BB0_350 Depth=3
	v_and_b32_e32 v24, 0x7c000000, v19
	v_bfe_u32 v27, v19, 24, 2
	v_cmp_ne_u32_e32 vcc, s52, v24
                                        ; implicit-def: $vgpr24
	s_and_saveexec_b64 s[76:77], vcc
	s_xor_b64 s[76:77], exec, s[76:77]
	s_cbranch_execz .LBB0_702
; %bb.701:                              ;   in Loop: Header=BB0_350 Depth=3
	v_ffbh_u32_e32 v28, v27
	v_min_u32_e32 v28, 32, v28
	v_subrev_u32_e32 v37, 29, v28
	v_bfe_u32 v24, v19, 26, 5
	v_lshlrev_b64 v[37:38], v37, v[0:1]
	v_sub_u32_e32 v0, 30, v28
	v_cmp_eq_u32_e32 vcc, 0, v24
	v_and_b32_e32 v28, 3, v37
	v_cndmask_b32_e32 v0, v24, v0, vcc
	v_and_b32_e32 v19, 0x80000000, v19
	v_cndmask_b32_e32 v24, v27, v28, vcc
	v_lshl_add_u32 v0, v0, 23, v19
	v_lshl_or_b32 v0, v24, 21, v0
	v_add_u32_e32 v24, 0x38000000, v0
                                        ; implicit-def: $vgpr27
.LBB0_702:                              ;   in Loop: Header=BB0_350 Depth=3
	s_andn2_saveexec_b64 s[76:77], s[76:77]
; %bb.703:                              ;   in Loop: Header=BB0_350 Depth=3
	v_cmp_lt_i32_e32 vcc, -1, v19
	v_cndmask_b32_e32 v0, v8, v54, vcc
	v_cmp_eq_u32_e32 vcc, 0, v27
	v_cndmask_b32_e32 v24, v55, v0, vcc
; %bb.704:                              ;   in Loop: Header=BB0_350 Depth=3
	s_or_b64 exec, exec, s[76:77]
.LBB0_705:                              ;   in Loop: Header=BB0_350 Depth=3
	s_or_b64 exec, exec, s[74:75]
.LBB0_706:                              ;   in Loop: Header=BB0_350 Depth=3
	s_or_b64 exec, exec, s[18:19]
	v_cmp_lt_u32_e32 vcc, s47, v2
	s_and_saveexec_b64 s[18:19], vcc
	s_cbranch_execz .LBB0_714
; %bb.707:                              ;   in Loop: Header=BB0_350 Depth=3
	v_lshrrev_b32_e32 v0, 24, v2
	v_cmp_ne_u32_e32 vcc, s48, v0
	v_bfrev_b32_e32 v20, 1
	s_and_saveexec_b64 s[74:75], vcc
	s_cbranch_execz .LBB0_713
; %bb.708:                              ;   in Loop: Header=BB0_350 Depth=3
	v_and_b32_e32 v20, 0x7c000000, v2
	v_bfe_u32 v19, v2, 24, 2
	v_cmp_ne_u32_e32 vcc, s52, v20
                                        ; implicit-def: $vgpr20
	s_and_saveexec_b64 s[76:77], vcc
	s_xor_b64 s[76:77], exec, s[76:77]
	s_cbranch_execz .LBB0_710
; %bb.709:                              ;   in Loop: Header=BB0_350 Depth=3
	v_ffbh_u32_e32 v27, v19
	v_min_u32_e32 v37, 32, v27
	v_subrev_u32_e32 v27, 29, v37
	v_bfe_u32 v20, v2, 26, 5
	v_lshlrev_b64 v[27:28], v27, v[0:1]
	v_sub_u32_e32 v0, 30, v37
	v_cmp_eq_u32_e32 vcc, 0, v20
	v_and_b32_e32 v27, 3, v27
	v_cndmask_b32_e32 v0, v20, v0, vcc
	v_and_b32_e32 v2, 0x80000000, v2
	v_cndmask_b32_e32 v19, v19, v27, vcc
	v_lshl_add_u32 v0, v0, 23, v2
	v_lshl_or_b32 v0, v19, 21, v0
	v_add_u32_e32 v20, 0x38000000, v0
                                        ; implicit-def: $vgpr19
.LBB0_710:                              ;   in Loop: Header=BB0_350 Depth=3
	s_andn2_saveexec_b64 s[76:77], s[76:77]
; %bb.711:                              ;   in Loop: Header=BB0_350 Depth=3
	v_cmp_lt_i32_e32 vcc, -1, v2
	v_cndmask_b32_e32 v0, v8, v54, vcc
	v_cmp_eq_u32_e32 vcc, 0, v19
	v_cndmask_b32_e32 v20, v55, v0, vcc
; %bb.712:                              ;   in Loop: Header=BB0_350 Depth=3
	s_or_b64 exec, exec, s[76:77]
.LBB0_713:                              ;   in Loop: Header=BB0_350 Depth=3
	s_or_b64 exec, exec, s[74:75]
.LBB0_714:                              ;   in Loop: Header=BB0_350 Depth=3
	s_or_b64 exec, exec, s[18:19]
	v_add_f32_e32 v19, v24, v20
	v_and_b32_e32 v27, 0x7f800000, v19
	v_mov_b32_e32 v28, v3
	v_cmp_ne_u64_e32 vcc, s[56:57], v[27:28]
	v_and_b32_e32 v2, 0x7fffff, v19
                                        ; implicit-def: $vgpr24
	s_and_saveexec_b64 s[18:19], vcc
	s_xor_b64 s[74:75], exec, s[18:19]
	s_cbranch_execz .LBB0_728
; %bb.715:                              ;   in Loop: Header=BB0_350 Depth=3
	v_and_b32_e32 v27, 0x7fffffff, v19
	v_mov_b32_e32 v28, v3
	v_cmp_gt_u64_e32 vcc, s[58:59], v[27:28]
	v_and_b32_sdwa v0, v19, s48 dst_sel:DWORD dst_unused:UNUSED_PAD src0_sel:BYTE_3 src1_sel:DWORD
                                        ; implicit-def: $vgpr24
	s_and_saveexec_b64 s[18:19], vcc
	s_xor_b64 s[76:77], exec, s[18:19]
	s_cbranch_execz .LBB0_725
; %bb.716:                              ;   in Loop: Header=BB0_350 Depth=3
	v_mov_b32_e32 v24, 0
	v_cmp_ne_u32_e32 vcc, 0, v19
	s_and_saveexec_b64 s[78:79], vcc
	s_cbranch_execz .LBB0_724
; %bb.717:                              ;   in Loop: Header=BB0_350 Depth=3
	v_bfe_u32 v24, v19, 23, 8
	v_cmp_gt_u32_e64 s[18:19], s49, v24
	v_sub_u32_e32 v19, 0x71, v24
	v_cmp_eq_u32_e32 vcc, 0, v24
	v_cndmask_b32_e64 v19, 0, v19, s[18:19]
	v_cndmask_b32_e32 v37, v19, v12, vcc
	v_or_b32_e32 v20, 0x800000, v2
	v_add_u32_e32 v19, 21, v37
	v_cndmask_b32_e32 v2, v20, v2, vcc
	v_lshlrev_b64 v[19:20], v19, -1
	v_add_u32_e32 v27, 20, v37
	v_lshlrev_b64 v[27:28], v27, 1
	v_bfi_b32 v20, v20, 0, 0
	v_bfi_b32 v19, v19, 0, v2
	v_cmp_eq_u64_e64 s[18:19], v[19:20], v[27:28]
	v_lshrrev_b64 v[19:20], v37, v[2:3]
	v_mov_b32_e32 v28, v20
	v_mov_b32_e32 v27, v19
	s_and_saveexec_b64 s[88:89], s[18:19]
; %bb.718:                              ;   in Loop: Header=BB0_350 Depth=3
	v_bfe_u32 v2, v19, 21, 1
	v_add_co_u32_e64 v2, s[18:19], v19, v2
	v_add_co_u32_e64 v27, s[18:19], -1, v2
; %bb.719:                              ;   in Loop: Header=BB0_350 Depth=3
	s_or_b64 exec, exec, s[88:89]
	v_add_u32_e32 v2, 0xffffff81, v24
	v_cndmask_b32_e32 v2, v2, v48, vcc
	v_lshrrev_b32_e32 v20, 23, v19
	v_add3_u32 v37, v37, v2, v20
	v_add_u32_e32 v28, 14, v37
	v_and_b32_e32 v2, 0x1fffff, v27
	v_add_u32_e32 v2, v2, v19
	v_cmp_ne_u32_e32 vcc, 0, v28
                                        ; implicit-def: $vgpr19_vgpr20
                                        ; implicit-def: $vgpr24
	s_and_saveexec_b64 s[18:19], vcc
	s_xor_b64 s[18:19], exec, s[18:19]
; %bb.720:                              ;   in Loop: Header=BB0_350 Depth=3
	v_cmp_lt_u64_e32 vcc, s[60:61], v[2:3]
	v_add_u32_e32 v19, 15, v37
	v_cndmask_b32_e32 v24, v28, v19, vcc
	v_cndmask_b32_e64 v19, 0, 1, vcc
	v_lshrrev_b64 v[19:20], v19, v[2:3]
; %bb.721:                              ;   in Loop: Header=BB0_350 Depth=3
	s_andn2_saveexec_b64 s[18:19], s[18:19]
; %bb.722:                              ;   in Loop: Header=BB0_350 Depth=3
	v_mov_b32_e32 v20, v3
	v_bfe_u32 v24, v2, 23, 1
	v_mov_b32_e32 v19, v2
; %bb.723:                              ;   in Loop: Header=BB0_350 Depth=3
	s_or_b64 exec, exec, s[18:19]
	v_lshrrev_b64 v[19:20], 21, v[19:20]
	v_cmp_gt_i32_e32 vcc, 32, v24
	v_cndmask_b32_e32 v20, 0, v20, vcc
	v_cndmask_b32_e32 v19, 3, v19, vcc
	v_min_i32_e32 v2, 31, v24
	v_cmp_eq_u64_e64 s[18:19], 0, v[19:20]
	v_lshlrev_b32_e32 v2, 2, v2
	v_cmp_eq_u32_e32 vcc, 0, v24
	v_and_b32_e32 v2, 0xfc, v2
	v_and_or_b32 v2, v19, 3, v2
	s_and_b64 s[18:19], vcc, s[18:19]
	v_cndmask_b32_e64 v2, v2, 0, s[18:19]
	v_or_b32_e32 v24, v2, v0
.LBB0_724:                              ;   in Loop: Header=BB0_350 Depth=3
	s_or_b64 exec, exec, s[78:79]
                                        ; implicit-def: $vgpr0
.LBB0_725:                              ;   in Loop: Header=BB0_350 Depth=3
	s_andn2_saveexec_b64 s[18:19], s[76:77]
; %bb.726:                              ;   in Loop: Header=BB0_350 Depth=3
	v_or_b32_e32 v24, 0x7b, v0
; %bb.727:                              ;   in Loop: Header=BB0_350 Depth=3
	s_or_b64 exec, exec, s[18:19]
                                        ; implicit-def: $vgpr19
.LBB0_728:                              ;   in Loop: Header=BB0_350 Depth=3
	s_andn2_saveexec_b64 s[18:19], s[74:75]
	s_cbranch_execz .LBB0_734
; %bb.729:                              ;   in Loop: Header=BB0_350 Depth=3
	v_cmp_ne_u64_e32 vcc, 0, v[2:3]
                                        ; implicit-def: $vgpr24
	s_and_saveexec_b64 s[74:75], vcc
	s_xor_b64 s[74:75], exec, s[74:75]
; %bb.730:                              ;   in Loop: Header=BB0_350 Depth=3
	v_or_b32_sdwa v24, v19, s50 dst_sel:DWORD dst_unused:UNUSED_PAD src0_sel:BYTE_3 src1_sel:DWORD
                                        ; implicit-def: $vgpr19
; %bb.731:                              ;   in Loop: Header=BB0_350 Depth=3
	s_andn2_saveexec_b64 s[74:75], s[74:75]
; %bb.732:                              ;   in Loop: Header=BB0_350 Depth=3
	v_cmp_lt_i32_e32 vcc, -1, v19
	v_cndmask_b32_e32 v24, v49, v11, vcc
; %bb.733:                              ;   in Loop: Header=BB0_350 Depth=3
	s_or_b64 exec, exec, s[74:75]
.LBB0_734:                              ;   in Loop: Header=BB0_350 Depth=3
	s_or_b64 exec, exec, s[18:19]
	v_cmp_ne_u16_sdwa s[74:75], v21, v3 src0_sel:BYTE_0 src1_sel:DWORD
	v_mov_b32_e32 v20, 0
	v_mov_b32_e32 v19, 0
	s_and_saveexec_b64 s[18:19], s[74:75]
	s_cbranch_execz .LBB0_742
; %bb.735:                              ;   in Loop: Header=BB0_350 Depth=3
	v_cmp_ne_u16_sdwa s[76:77], sext(v21), s38 src0_sel:BYTE_0 src1_sel:DWORD
	v_bfrev_b32_e32 v19, 1
	s_and_saveexec_b64 s[74:75], s[76:77]
	s_cbranch_execz .LBB0_741
; %bb.736:                              ;   in Loop: Header=BB0_350 Depth=3
	v_and_b32_e32 v2, 0x7c, v21
	v_and_b32_e32 v0, 3, v21
	v_cmp_ne_u32_e32 vcc, s39, v2
                                        ; implicit-def: $vgpr19
	s_and_saveexec_b64 s[76:77], vcc
	s_xor_b64 s[76:77], exec, s[76:77]
	s_cbranch_execz .LBB0_738
; %bb.737:                              ;   in Loop: Header=BB0_350 Depth=3
	v_ffbh_u32_e32 v19, v0
	v_min_u32_e32 v19, 32, v19
	v_bfe_u32 v2, v21, 2, 5
	v_subrev_u32_e32 v27, 29, v19
	v_lshlrev_b64 v[27:28], v27, v[21:22]
	v_sub_u32_e32 v19, 30, v19
	v_cmp_eq_u32_e32 vcc, 0, v2
	v_cndmask_b32_e32 v2, v2, v19, vcc
	v_lshlrev_b32_e32 v19, 24, v21
	v_and_b32_e32 v22, 3, v27
	v_and_b32_e32 v19, 0x80000000, v19
	v_cndmask_b32_e32 v0, v0, v22, vcc
	v_lshl_add_u32 v2, v2, 23, v19
	v_lshl_or_b32 v0, v0, 21, v2
	v_add_u32_e32 v19, 0x38000000, v0
                                        ; implicit-def: $vgpr0
.LBB0_738:                              ;   in Loop: Header=BB0_350 Depth=3
	s_andn2_saveexec_b64 s[76:77], s[76:77]
; %bb.739:                              ;   in Loop: Header=BB0_350 Depth=3
	v_cmp_gt_i16_sdwa vcc, sext(v21), v7 src0_sel:BYTE_0 src1_sel:DWORD
	v_cndmask_b32_e32 v2, v8, v54, vcc
	v_cmp_eq_u32_e32 vcc, 0, v0
	v_cndmask_b32_e32 v19, v55, v2, vcc
; %bb.740:                              ;   in Loop: Header=BB0_350 Depth=3
	s_or_b64 exec, exec, s[76:77]
.LBB0_741:                              ;   in Loop: Header=BB0_350 Depth=3
	s_or_b64 exec, exec, s[74:75]
.LBB0_742:                              ;   in Loop: Header=BB0_350 Depth=3
	s_or_b64 exec, exec, s[18:19]
	v_lshlrev_b32_e32 v2, 24, v36
	v_lshlrev_b32_e32 v22, 16, v23
	v_lshl_or_b32 v0, v57, 8, v59
	v_or3_b32 v2, v22, v2, v0
	v_cmp_ne_u32_e32 vcc, 0, v59
	s_and_saveexec_b64 s[74:75], vcc
	s_cbranch_execz .LBB0_750
; %bb.743:                              ;   in Loop: Header=BB0_350 Depth=3
	v_cmp_ne_u32_e32 vcc, s48, v59
	v_bfrev_b32_e32 v20, 1
	s_and_saveexec_b64 s[76:77], vcc
	s_cbranch_execz .LBB0_749
; %bb.744:                              ;   in Loop: Header=BB0_350 Depth=3
	v_and_b32_e32 v20, 0x7c, v59
	v_and_b32_e32 v22, 3, v59
	v_cmp_ne_u32_e32 vcc, s39, v20
                                        ; implicit-def: $vgpr20
	s_and_saveexec_b64 s[18:19], vcc
	s_xor_b64 s[18:19], exec, s[18:19]
	s_cbranch_execz .LBB0_746
; %bb.745:                              ;   in Loop: Header=BB0_350 Depth=3
	v_ffbh_u32_e32 v23, v22
	v_min_u32_e32 v23, 32, v23
	v_bfe_u32 v20, v59, 2, 5
	v_subrev_u32_e32 v27, 29, v23
	v_lshlrev_b64 v[27:28], v27, v[2:3]
	v_sub_u32_e32 v23, 30, v23
	v_cmp_eq_u32_e32 vcc, 0, v20
	v_cndmask_b32_e32 v20, v20, v23, vcc
	v_lshlrev_b32_e32 v23, 24, v59
	v_and_b32_e32 v27, 3, v27
	v_and_b32_e32 v23, 0x80000000, v23
	v_cndmask_b32_e32 v22, v22, v27, vcc
	v_lshl_add_u32 v20, v20, 23, v23
	v_lshl_or_b32 v20, v22, 21, v20
	v_add_u32_e32 v20, 0x38000000, v20
                                        ; implicit-def: $vgpr22
                                        ; implicit-def: $vgpr59
.LBB0_746:                              ;   in Loop: Header=BB0_350 Depth=3
	s_andn2_saveexec_b64 s[78:79], s[18:19]
; %bb.747:                              ;   in Loop: Header=BB0_350 Depth=3
	v_and_b32_e32 v20, 0x80, v59
	v_cmp_eq_u32_e64 s[18:19], 0, v20
	v_cmp_eq_u32_e32 vcc, 0, v22
	v_cndmask_b32_e64 v20, v8, v54, s[18:19]
	v_cndmask_b32_e32 v20, v55, v20, vcc
; %bb.748:                              ;   in Loop: Header=BB0_350 Depth=3
	s_or_b64 exec, exec, s[78:79]
.LBB0_749:                              ;   in Loop: Header=BB0_350 Depth=3
	s_or_b64 exec, exec, s[76:77]
.LBB0_750:                              ;   in Loop: Header=BB0_350 Depth=3
	s_or_b64 exec, exec, s[74:75]
	v_add_f32_e32 v27, v19, v20
	v_and_b32_e32 v22, 0x7f800000, v27
	v_mov_b32_e32 v23, v3
	v_cmp_ne_u64_e32 vcc, s[56:57], v[22:23]
	v_and_b32_e32 v19, 0x7fffff, v27
	v_mov_b32_e32 v20, v3
                                        ; implicit-def: $vgpr22
	s_and_saveexec_b64 s[18:19], vcc
	s_xor_b64 s[74:75], exec, s[18:19]
	s_cbranch_execz .LBB0_764
; %bb.751:                              ;   in Loop: Header=BB0_350 Depth=3
	v_and_b32_e32 v22, 0x7fffffff, v27
	v_mov_b32_e32 v23, v3
	v_cmp_gt_u64_e32 vcc, s[58:59], v[22:23]
	v_and_b32_sdwa v23, v27, s48 dst_sel:DWORD dst_unused:UNUSED_PAD src0_sel:BYTE_3 src1_sel:DWORD
                                        ; implicit-def: $vgpr22
	s_and_saveexec_b64 s[18:19], vcc
	s_xor_b64 s[76:77], exec, s[18:19]
	s_cbranch_execz .LBB0_761
; %bb.752:                              ;   in Loop: Header=BB0_350 Depth=3
	v_mov_b32_e32 v22, 0
	v_cmp_ne_u32_e32 vcc, 0, v27
	s_and_saveexec_b64 s[78:79], vcc
	s_cbranch_execz .LBB0_760
; %bb.753:                              ;   in Loop: Header=BB0_350 Depth=3
	v_bfe_u32 v22, v27, 23, 8
	v_cmp_gt_u32_e64 s[18:19], s49, v22
	v_sub_u32_e32 v27, 0x71, v22
	v_cmp_eq_u32_e32 vcc, 0, v22
	v_cndmask_b32_e64 v27, 0, v27, s[18:19]
	v_cndmask_b32_e32 v36, v27, v12, vcc
	v_or_b32_e32 v28, 0x800000, v19
	v_add_u32_e32 v27, 21, v36
	v_cndmask_b32_e32 v19, v28, v19, vcc
	v_lshlrev_b64 v[27:28], v27, -1
	v_add_u32_e32 v37, 20, v36
	v_bfi_b32 v27, v27, 0, v19
	v_lshlrev_b64 v[37:38], v37, 1
	v_lshrrev_b64 v[19:20], v36, v[19:20]
	v_bfi_b32 v28, v28, 0, 0
	v_cmp_eq_u64_e64 s[18:19], v[27:28], v[37:38]
	v_mov_b32_e32 v28, v20
	v_mov_b32_e32 v27, v19
	s_and_saveexec_b64 s[88:89], s[18:19]
; %bb.754:                              ;   in Loop: Header=BB0_350 Depth=3
	v_bfe_u32 v20, v19, 21, 1
	v_add_co_u32_e64 v20, s[18:19], v19, v20
	v_add_co_u32_e64 v27, s[18:19], -1, v20
; %bb.755:                              ;   in Loop: Header=BB0_350 Depth=3
	s_or_b64 exec, exec, s[88:89]
	v_add_u32_e32 v20, 0xffffff81, v22
	v_cndmask_b32_e32 v20, v20, v48, vcc
	v_lshrrev_b32_e32 v22, 23, v19
	v_add3_u32 v36, v36, v20, v22
	v_add_u32_e32 v28, 14, v36
	v_and_b32_e32 v20, 0x1fffff, v27
	v_add_u32_e32 v19, v20, v19
	v_mov_b32_e32 v20, v3
	v_cmp_ne_u32_e32 vcc, 0, v28
                                        ; implicit-def: $vgpr22
	s_and_saveexec_b64 s[18:19], vcc
	s_xor_b64 s[18:19], exec, s[18:19]
; %bb.756:                              ;   in Loop: Header=BB0_350 Depth=3
	v_cmp_lt_u64_e32 vcc, s[60:61], v[19:20]
	v_add_u32_e32 v22, 15, v36
	v_cndmask_b32_e64 v27, 0, 1, vcc
	v_cndmask_b32_e32 v22, v28, v22, vcc
	v_lshrrev_b64 v[19:20], v27, v[19:20]
; %bb.757:                              ;   in Loop: Header=BB0_350 Depth=3
	s_andn2_saveexec_b64 s[18:19], s[18:19]
; %bb.758:                              ;   in Loop: Header=BB0_350 Depth=3
	v_bfe_u32 v22, v19, 23, 1
; %bb.759:                              ;   in Loop: Header=BB0_350 Depth=3
	s_or_b64 exec, exec, s[18:19]
	v_lshrrev_b64 v[19:20], 21, v[19:20]
	v_cmp_gt_i32_e32 vcc, 32, v22
	v_cndmask_b32_e32 v20, 0, v20, vcc
	v_cndmask_b32_e32 v19, 3, v19, vcc
	v_cmp_eq_u64_e64 s[18:19], 0, v[19:20]
	v_min_i32_e32 v20, 31, v22
	v_lshlrev_b32_e32 v20, 2, v20
	v_cmp_eq_u32_e32 vcc, 0, v22
	v_and_b32_e32 v20, 0xfc, v20
	v_and_or_b32 v19, v19, 3, v20
	s_and_b64 s[18:19], vcc, s[18:19]
	v_cndmask_b32_e64 v19, v19, 0, s[18:19]
	v_or_b32_e32 v22, v19, v23
.LBB0_760:                              ;   in Loop: Header=BB0_350 Depth=3
	s_or_b64 exec, exec, s[78:79]
                                        ; implicit-def: $vgpr23
.LBB0_761:                              ;   in Loop: Header=BB0_350 Depth=3
	s_andn2_saveexec_b64 s[18:19], s[76:77]
; %bb.762:                              ;   in Loop: Header=BB0_350 Depth=3
	v_or_b32_e32 v22, 0x7b, v23
; %bb.763:                              ;   in Loop: Header=BB0_350 Depth=3
	s_or_b64 exec, exec, s[18:19]
                                        ; implicit-def: $vgpr27
                                        ; implicit-def: $vgpr19_vgpr20
.LBB0_764:                              ;   in Loop: Header=BB0_350 Depth=3
	s_andn2_saveexec_b64 s[18:19], s[74:75]
	s_cbranch_execz .LBB0_770
; %bb.765:                              ;   in Loop: Header=BB0_350 Depth=3
	v_cmp_ne_u64_e32 vcc, 0, v[19:20]
                                        ; implicit-def: $vgpr22
	s_and_saveexec_b64 s[74:75], vcc
	s_xor_b64 s[74:75], exec, s[74:75]
; %bb.766:                              ;   in Loop: Header=BB0_350 Depth=3
	v_or_b32_sdwa v22, v27, s50 dst_sel:DWORD dst_unused:UNUSED_PAD src0_sel:BYTE_3 src1_sel:DWORD
                                        ; implicit-def: $vgpr27
; %bb.767:                              ;   in Loop: Header=BB0_350 Depth=3
	s_andn2_saveexec_b64 s[74:75], s[74:75]
; %bb.768:                              ;   in Loop: Header=BB0_350 Depth=3
	v_cmp_lt_i32_e32 vcc, -1, v27
	v_cndmask_b32_e32 v22, v49, v11, vcc
; %bb.769:                              ;   in Loop: Header=BB0_350 Depth=3
	s_or_b64 exec, exec, s[74:75]
.LBB0_770:                              ;   in Loop: Header=BB0_350 Depth=3
	s_or_b64 exec, exec, s[18:19]
	v_lshrrev_b16_e32 v19, 8, v21
	v_cmp_ne_u16_e32 vcc, 0, v19
	v_mov_b32_e32 v23, 0
	v_mov_b32_e32 v27, 0
	s_and_saveexec_b64 s[18:19], vcc
	s_cbranch_execz .LBB0_778
; %bb.771:                              ;   in Loop: Header=BB0_350 Depth=3
	v_cmp_ne_u16_e32 vcc, s48, v19
	v_bfrev_b32_e32 v27, 1
	s_and_saveexec_b64 s[74:75], vcc
	s_cbranch_execz .LBB0_777
; %bb.772:                              ;   in Loop: Header=BB0_350 Depth=3
	v_and_b32_e32 v20, 0x7c, v19
	v_and_b32_e32 v28, 3, v19
	v_cmp_ne_u32_e32 vcc, s39, v20
                                        ; implicit-def: $vgpr27
	s_and_saveexec_b64 s[76:77], vcc
	s_xor_b64 s[76:77], exec, s[76:77]
	s_cbranch_execz .LBB0_774
; %bb.773:                              ;   in Loop: Header=BB0_350 Depth=3
	v_ffbh_u32_e32 v36, v28
	v_min_u32_e32 v36, 32, v36
	v_mov_b32_e32 v20, v3
	v_subrev_u32_e32 v37, 29, v36
	v_bfe_u32 v27, v19, 2, 5
	v_lshlrev_b64 v[19:20], v37, v[19:20]
	v_sub_u32_e32 v20, 30, v36
	v_cmp_eq_u32_e32 vcc, 0, v27
	v_cndmask_b32_e32 v20, v27, v20, vcc
	v_lshlrev_b32_e32 v27, 16, v21
	v_and_b32_e32 v19, 3, v19
	v_and_b32_e32 v27, 0x80000000, v27
	v_cndmask_b32_e32 v19, v28, v19, vcc
	v_lshl_add_u32 v20, v20, 23, v27
	v_lshl_or_b32 v19, v19, 21, v20
	v_add_u32_e32 v27, 0x38000000, v19
                                        ; implicit-def: $vgpr28
.LBB0_774:                              ;   in Loop: Header=BB0_350 Depth=3
	s_andn2_saveexec_b64 s[76:77], s[76:77]
; %bb.775:                              ;   in Loop: Header=BB0_350 Depth=3
	v_cmp_lt_i16_e32 vcc, -1, v21
	v_cndmask_b32_e32 v19, v8, v54, vcc
	v_cmp_eq_u32_e32 vcc, 0, v28
	v_cndmask_b32_e32 v27, v55, v19, vcc
; %bb.776:                              ;   in Loop: Header=BB0_350 Depth=3
	s_or_b64 exec, exec, s[76:77]
.LBB0_777:                              ;   in Loop: Header=BB0_350 Depth=3
	s_or_b64 exec, exec, s[74:75]
.LBB0_778:                              ;   in Loop: Header=BB0_350 Depth=3
	s_or_b64 exec, exec, s[18:19]
	v_lshrrev_b16_e32 v19, 8, v0
	v_cmp_ne_u16_e32 vcc, 0, v19
	s_and_saveexec_b64 s[18:19], vcc
	s_cbranch_execz .LBB0_786
; %bb.779:                              ;   in Loop: Header=BB0_350 Depth=3
	v_cmp_ne_u16_e32 vcc, s48, v19
	v_bfrev_b32_e32 v23, 1
	s_and_saveexec_b64 s[74:75], vcc
	s_cbranch_execz .LBB0_785
; %bb.780:                              ;   in Loop: Header=BB0_350 Depth=3
	v_and_b32_e32 v20, 0x7c, v19
	v_and_b32_e32 v28, 3, v19
	v_cmp_ne_u32_e32 vcc, s39, v20
                                        ; implicit-def: $vgpr23
	s_and_saveexec_b64 s[76:77], vcc
	s_xor_b64 s[76:77], exec, s[76:77]
	s_cbranch_execz .LBB0_782
; %bb.781:                              ;   in Loop: Header=BB0_350 Depth=3
	v_ffbh_u32_e32 v36, v28
	v_min_u32_e32 v36, 32, v36
	v_mov_b32_e32 v20, v3
	v_subrev_u32_e32 v37, 29, v36
	v_bfe_u32 v23, v19, 2, 5
	v_lshlrev_b64 v[19:20], v37, v[19:20]
	v_sub_u32_e32 v20, 30, v36
	v_cmp_eq_u32_e32 vcc, 0, v23
	v_lshlrev_b32_e32 v0, 16, v0
	v_and_b32_e32 v19, 3, v19
	v_cndmask_b32_e32 v20, v23, v20, vcc
	v_and_b32_e32 v0, 0x80000000, v0
	v_cndmask_b32_e32 v19, v28, v19, vcc
	v_lshl_add_u32 v0, v20, 23, v0
	v_lshl_or_b32 v0, v19, 21, v0
	v_add_u32_e32 v23, 0x38000000, v0
                                        ; implicit-def: $vgpr28
                                        ; implicit-def: $vgpr0
.LBB0_782:                              ;   in Loop: Header=BB0_350 Depth=3
	s_andn2_saveexec_b64 s[76:77], s[76:77]
; %bb.783:                              ;   in Loop: Header=BB0_350 Depth=3
	v_cmp_lt_i16_e32 vcc, -1, v0
	v_cndmask_b32_e32 v0, v8, v54, vcc
	v_cmp_eq_u32_e32 vcc, 0, v28
	v_cndmask_b32_e32 v23, v55, v0, vcc
; %bb.784:                              ;   in Loop: Header=BB0_350 Depth=3
	s_or_b64 exec, exec, s[76:77]
.LBB0_785:                              ;   in Loop: Header=BB0_350 Depth=3
	s_or_b64 exec, exec, s[74:75]
.LBB0_786:                              ;   in Loop: Header=BB0_350 Depth=3
	s_or_b64 exec, exec, s[18:19]
	v_add_f32_e32 v27, v27, v23
	v_and_b32_e32 v36, 0x7f800000, v27
	v_mov_b32_e32 v37, v3
	v_cmp_ne_u64_e32 vcc, s[56:57], v[36:37]
	v_and_b32_e32 v19, 0x7fffff, v27
	v_mov_b32_e32 v20, v3
                                        ; implicit-def: $vgpr23
	s_and_saveexec_b64 s[18:19], vcc
	s_xor_b64 s[74:75], exec, s[18:19]
	s_cbranch_execz .LBB0_800
; %bb.787:                              ;   in Loop: Header=BB0_350 Depth=3
	v_and_b32_e32 v36, 0x7fffffff, v27
	v_mov_b32_e32 v37, v3
	v_cmp_gt_u64_e32 vcc, s[58:59], v[36:37]
	v_and_b32_sdwa v0, v27, s48 dst_sel:DWORD dst_unused:UNUSED_PAD src0_sel:BYTE_3 src1_sel:DWORD
                                        ; implicit-def: $vgpr23
	s_and_saveexec_b64 s[18:19], vcc
	s_xor_b64 s[76:77], exec, s[18:19]
	s_cbranch_execz .LBB0_797
; %bb.788:                              ;   in Loop: Header=BB0_350 Depth=3
	v_mov_b32_e32 v23, 0
	v_cmp_ne_u32_e32 vcc, 0, v27
	s_and_saveexec_b64 s[78:79], vcc
	s_cbranch_execz .LBB0_796
; %bb.789:                              ;   in Loop: Header=BB0_350 Depth=3
	v_bfe_u32 v23, v27, 23, 8
	v_cmp_gt_u32_e64 s[18:19], s49, v23
	v_sub_u32_e32 v27, 0x71, v23
	v_cmp_eq_u32_e32 vcc, 0, v23
	v_cndmask_b32_e64 v27, 0, v27, s[18:19]
	v_cndmask_b32_e32 v36, v27, v12, vcc
	v_or_b32_e32 v28, 0x800000, v19
	v_add_u32_e32 v27, 21, v36
	v_cndmask_b32_e32 v19, v28, v19, vcc
	v_lshlrev_b64 v[27:28], v27, -1
	v_add_u32_e32 v37, 20, v36
	v_bfi_b32 v27, v27, 0, v19
	v_lshlrev_b64 v[37:38], v37, 1
	v_lshrrev_b64 v[19:20], v36, v[19:20]
	v_bfi_b32 v28, v28, 0, 0
	v_cmp_eq_u64_e64 s[18:19], v[27:28], v[37:38]
	v_mov_b32_e32 v28, v20
	v_mov_b32_e32 v27, v19
	s_and_saveexec_b64 s[88:89], s[18:19]
; %bb.790:                              ;   in Loop: Header=BB0_350 Depth=3
	v_bfe_u32 v20, v19, 21, 1
	v_add_co_u32_e64 v20, s[18:19], v19, v20
	v_add_co_u32_e64 v27, s[18:19], -1, v20
; %bb.791:                              ;   in Loop: Header=BB0_350 Depth=3
	s_or_b64 exec, exec, s[88:89]
	v_add_u32_e32 v20, 0xffffff81, v23
	v_cndmask_b32_e32 v20, v20, v48, vcc
	v_lshrrev_b32_e32 v23, 23, v19
	v_add3_u32 v36, v36, v20, v23
	v_add_u32_e32 v28, 14, v36
	v_and_b32_e32 v20, 0x1fffff, v27
	v_add_u32_e32 v19, v20, v19
	v_mov_b32_e32 v20, v3
	v_cmp_ne_u32_e32 vcc, 0, v28
                                        ; implicit-def: $vgpr23
	s_and_saveexec_b64 s[18:19], vcc
	s_xor_b64 s[18:19], exec, s[18:19]
; %bb.792:                              ;   in Loop: Header=BB0_350 Depth=3
	v_cmp_lt_u64_e32 vcc, s[60:61], v[19:20]
	v_add_u32_e32 v23, 15, v36
	v_cndmask_b32_e64 v27, 0, 1, vcc
	v_cndmask_b32_e32 v23, v28, v23, vcc
	v_lshrrev_b64 v[19:20], v27, v[19:20]
; %bb.793:                              ;   in Loop: Header=BB0_350 Depth=3
	s_andn2_saveexec_b64 s[18:19], s[18:19]
; %bb.794:                              ;   in Loop: Header=BB0_350 Depth=3
	v_bfe_u32 v23, v19, 23, 1
; %bb.795:                              ;   in Loop: Header=BB0_350 Depth=3
	s_or_b64 exec, exec, s[18:19]
	v_lshrrev_b64 v[19:20], 21, v[19:20]
	v_cmp_gt_i32_e32 vcc, 32, v23
	v_cndmask_b32_e32 v20, 0, v20, vcc
	v_cndmask_b32_e32 v19, 3, v19, vcc
	v_cmp_eq_u64_e64 s[18:19], 0, v[19:20]
	v_min_i32_e32 v20, 31, v23
	v_lshlrev_b32_e32 v20, 2, v20
	v_cmp_eq_u32_e32 vcc, 0, v23
	v_and_b32_e32 v20, 0xfc, v20
	v_and_or_b32 v19, v19, 3, v20
	s_and_b64 s[18:19], vcc, s[18:19]
	v_cndmask_b32_e64 v19, v19, 0, s[18:19]
	v_or_b32_e32 v23, v19, v0
.LBB0_796:                              ;   in Loop: Header=BB0_350 Depth=3
	s_or_b64 exec, exec, s[78:79]
                                        ; implicit-def: $vgpr0
.LBB0_797:                              ;   in Loop: Header=BB0_350 Depth=3
	s_andn2_saveexec_b64 s[18:19], s[76:77]
; %bb.798:                              ;   in Loop: Header=BB0_350 Depth=3
	v_or_b32_e32 v23, 0x7b, v0
; %bb.799:                              ;   in Loop: Header=BB0_350 Depth=3
	s_or_b64 exec, exec, s[18:19]
                                        ; implicit-def: $vgpr27
                                        ; implicit-def: $vgpr19_vgpr20
.LBB0_800:                              ;   in Loop: Header=BB0_350 Depth=3
	s_andn2_saveexec_b64 s[18:19], s[74:75]
	s_cbranch_execz .LBB0_806
; %bb.801:                              ;   in Loop: Header=BB0_350 Depth=3
	v_cmp_ne_u64_e32 vcc, 0, v[19:20]
                                        ; implicit-def: $vgpr23
	s_and_saveexec_b64 s[74:75], vcc
	s_xor_b64 s[74:75], exec, s[74:75]
; %bb.802:                              ;   in Loop: Header=BB0_350 Depth=3
	v_or_b32_sdwa v23, v27, s50 dst_sel:DWORD dst_unused:UNUSED_PAD src0_sel:BYTE_3 src1_sel:DWORD
                                        ; implicit-def: $vgpr27
; %bb.803:                              ;   in Loop: Header=BB0_350 Depth=3
	s_andn2_saveexec_b64 s[74:75], s[74:75]
; %bb.804:                              ;   in Loop: Header=BB0_350 Depth=3
	v_cmp_lt_i32_e32 vcc, -1, v27
	v_cndmask_b32_e32 v23, v49, v11, vcc
; %bb.805:                              ;   in Loop: Header=BB0_350 Depth=3
	s_or_b64 exec, exec, s[74:75]
.LBB0_806:                              ;   in Loop: Header=BB0_350 Depth=3
	s_or_b64 exec, exec, s[18:19]
	v_lshrrev_b32_e32 v0, 16, v21
	v_cmp_ne_u16_sdwa s[74:75], v0, v3 src0_sel:BYTE_0 src1_sel:DWORD
	v_mov_b32_e32 v19, 0
	v_mov_b32_e32 v20, 0
	s_and_saveexec_b64 s[18:19], s[74:75]
	s_cbranch_execz .LBB0_814
; %bb.807:                              ;   in Loop: Header=BB0_350 Depth=3
	v_cmp_ne_u16_sdwa s[76:77], v0, s48 src0_sel:BYTE_0 src1_sel:DWORD
	v_bfrev_b32_e32 v20, 1
	s_and_saveexec_b64 s[74:75], s[76:77]
	s_cbranch_execz .LBB0_813
; %bb.808:                              ;   in Loop: Header=BB0_350 Depth=3
	v_and_b32_e32 v20, 0x7c0000, v21
	v_bfe_u32 v27, v21, 16, 2
	v_cmp_ne_u32_e32 vcc, s51, v20
                                        ; implicit-def: $vgpr20
	s_and_saveexec_b64 s[76:77], vcc
	s_xor_b64 s[76:77], exec, s[76:77]
	s_cbranch_execz .LBB0_810
; %bb.809:                              ;   in Loop: Header=BB0_350 Depth=3
	v_ffbh_u32_e32 v28, v27
	v_min_u32_e32 v28, 32, v28
	v_subrev_u32_e32 v36, 29, v28
	v_lshlrev_b64 v[36:37], v36, v[0:1]
	v_bfe_u32 v20, v21, 18, 5
	v_sub_u32_e32 v0, 30, v28
	v_and_b32_e32 v28, 3, v36
	v_cmp_eq_u32_e32 vcc, 0, v20
	v_cndmask_b32_e32 v0, v20, v0, vcc
	v_cndmask_b32_e32 v20, v27, v28, vcc
	v_lshlrev_b32_e32 v27, 8, v21
	v_and_b32_e32 v27, 0x80000000, v27
	v_lshl_add_u32 v0, v0, 23, v27
	v_lshl_or_b32 v0, v20, 21, v0
	v_add_u32_e32 v20, 0x38000000, v0
                                        ; implicit-def: $vgpr27
                                        ; implicit-def: $vgpr0
.LBB0_810:                              ;   in Loop: Header=BB0_350 Depth=3
	s_andn2_saveexec_b64 s[76:77], s[76:77]
; %bb.811:                              ;   in Loop: Header=BB0_350 Depth=3
	v_cmp_gt_i16_sdwa vcc, sext(v0), v7 src0_sel:BYTE_0 src1_sel:DWORD
	v_cndmask_b32_e32 v0, v8, v54, vcc
	v_cmp_eq_u32_e32 vcc, 0, v27
	v_cndmask_b32_e32 v20, v55, v0, vcc
; %bb.812:                              ;   in Loop: Header=BB0_350 Depth=3
	s_or_b64 exec, exec, s[76:77]
.LBB0_813:                              ;   in Loop: Header=BB0_350 Depth=3
	s_or_b64 exec, exec, s[74:75]
.LBB0_814:                              ;   in Loop: Header=BB0_350 Depth=3
	s_or_b64 exec, exec, s[18:19]
	v_and_b32_sdwa v27, v2, s37 dst_sel:DWORD dst_unused:UNUSED_PAD src0_sel:WORD_1 src1_sel:DWORD
	v_lshrrev_b32_e32 v0, 16, v2
	v_cmp_ne_u16_e32 vcc, 0, v27
	s_and_saveexec_b64 s[18:19], vcc
	s_cbranch_execz .LBB0_822
; %bb.815:                              ;   in Loop: Header=BB0_350 Depth=3
	v_cmp_ne_u16_e32 vcc, s48, v27
	v_bfrev_b32_e32 v19, 1
	s_and_saveexec_b64 s[74:75], vcc
	s_cbranch_execz .LBB0_821
; %bb.816:                              ;   in Loop: Header=BB0_350 Depth=3
	v_and_b32_e32 v19, 0x7c0000, v2
	v_bfe_u32 v27, v2, 16, 2
	v_cmp_ne_u32_e32 vcc, s51, v19
                                        ; implicit-def: $vgpr19
	s_and_saveexec_b64 s[76:77], vcc
	s_xor_b64 s[76:77], exec, s[76:77]
	s_cbranch_execz .LBB0_818
; %bb.817:                              ;   in Loop: Header=BB0_350 Depth=3
	v_ffbh_u32_e32 v28, v27
	v_min_u32_e32 v28, 32, v28
	v_subrev_u32_e32 v36, 29, v28
	v_lshlrev_b64 v[36:37], v36, v[0:1]
	v_bfe_u32 v19, v2, 18, 5
	v_sub_u32_e32 v0, 30, v28
	v_and_b32_e32 v28, 3, v36
	v_cmp_eq_u32_e32 vcc, 0, v19
	v_cndmask_b32_e32 v0, v19, v0, vcc
	v_cndmask_b32_e32 v19, v27, v28, vcc
	v_lshlrev_b32_e32 v27, 8, v2
	v_and_b32_e32 v27, 0x80000000, v27
	v_lshl_add_u32 v0, v0, 23, v27
	v_lshl_or_b32 v0, v19, 21, v0
	v_add_u32_e32 v19, 0x38000000, v0
                                        ; implicit-def: $vgpr27
                                        ; implicit-def: $vgpr0
.LBB0_818:                              ;   in Loop: Header=BB0_350 Depth=3
	s_andn2_saveexec_b64 s[76:77], s[76:77]
; %bb.819:                              ;   in Loop: Header=BB0_350 Depth=3
	v_cmp_gt_i16_sdwa vcc, sext(v0), v7 src0_sel:BYTE_0 src1_sel:DWORD
	v_cndmask_b32_e32 v0, v8, v54, vcc
	v_cmp_eq_u32_e32 vcc, 0, v27
	v_cndmask_b32_e32 v19, v55, v0, vcc
; %bb.820:                              ;   in Loop: Header=BB0_350 Depth=3
	s_or_b64 exec, exec, s[76:77]
.LBB0_821:                              ;   in Loop: Header=BB0_350 Depth=3
	s_or_b64 exec, exec, s[74:75]
.LBB0_822:                              ;   in Loop: Header=BB0_350 Depth=3
	s_or_b64 exec, exec, s[18:19]
	v_add_f32_e32 v28, v20, v19
	v_and_b32_e32 v36, 0x7f800000, v28
	v_mov_b32_e32 v37, v3
	v_cmp_ne_u64_e32 vcc, s[56:57], v[36:37]
	v_and_b32_e32 v19, 0x7fffff, v28
	v_mov_b32_e32 v20, v3
                                        ; implicit-def: $vgpr27
	s_and_saveexec_b64 s[18:19], vcc
	s_xor_b64 s[74:75], exec, s[18:19]
	s_cbranch_execz .LBB0_836
; %bb.823:                              ;   in Loop: Header=BB0_350 Depth=3
	v_and_b32_e32 v36, 0x7fffffff, v28
	v_mov_b32_e32 v37, v3
	v_cmp_gt_u64_e32 vcc, s[58:59], v[36:37]
	v_and_b32_sdwa v0, v28, s48 dst_sel:DWORD dst_unused:UNUSED_PAD src0_sel:BYTE_3 src1_sel:DWORD
                                        ; implicit-def: $vgpr27
	s_and_saveexec_b64 s[18:19], vcc
	s_xor_b64 s[76:77], exec, s[18:19]
	s_cbranch_execz .LBB0_833
; %bb.824:                              ;   in Loop: Header=BB0_350 Depth=3
	v_mov_b32_e32 v27, 0
	v_cmp_ne_u32_e32 vcc, 0, v28
	s_and_saveexec_b64 s[78:79], vcc
	s_cbranch_execz .LBB0_832
; %bb.825:                              ;   in Loop: Header=BB0_350 Depth=3
	v_bfe_u32 v36, v28, 23, 8
	v_cmp_gt_u32_e64 s[18:19], s49, v36
	v_sub_u32_e32 v27, 0x71, v36
	v_cmp_eq_u32_e32 vcc, 0, v36
	v_cndmask_b32_e64 v27, 0, v27, s[18:19]
	v_cndmask_b32_e32 v37, v27, v12, vcc
	v_or_b32_e32 v28, 0x800000, v19
	v_add_u32_e32 v27, 21, v37
	v_cndmask_b32_e32 v19, v28, v19, vcc
	v_lshlrev_b64 v[27:28], v27, -1
	v_add_u32_e32 v38, 20, v37
	v_bfi_b32 v27, v27, 0, v19
	v_lshlrev_b64 v[38:39], v38, 1
	v_lshrrev_b64 v[19:20], v37, v[19:20]
	v_bfi_b32 v28, v28, 0, 0
	v_cmp_eq_u64_e64 s[18:19], v[27:28], v[38:39]
	v_mov_b32_e32 v28, v20
	v_mov_b32_e32 v27, v19
	s_and_saveexec_b64 s[88:89], s[18:19]
; %bb.826:                              ;   in Loop: Header=BB0_350 Depth=3
	v_bfe_u32 v20, v19, 21, 1
	v_add_co_u32_e64 v20, s[18:19], v19, v20
	v_add_co_u32_e64 v27, s[18:19], -1, v20
; %bb.827:                              ;   in Loop: Header=BB0_350 Depth=3
	s_or_b64 exec, exec, s[88:89]
	v_add_u32_e32 v20, 0xffffff81, v36
	v_cndmask_b32_e32 v20, v20, v48, vcc
	v_lshrrev_b32_e32 v28, 23, v19
	v_add3_u32 v36, v37, v20, v28
	v_add_u32_e32 v28, 14, v36
	v_and_b32_e32 v20, 0x1fffff, v27
	v_add_u32_e32 v19, v20, v19
	v_mov_b32_e32 v20, v3
	v_cmp_ne_u32_e32 vcc, 0, v28
                                        ; implicit-def: $vgpr27
	s_and_saveexec_b64 s[18:19], vcc
	s_xor_b64 s[18:19], exec, s[18:19]
; %bb.828:                              ;   in Loop: Header=BB0_350 Depth=3
	v_cmp_lt_u64_e32 vcc, s[60:61], v[19:20]
	v_add_u32_e32 v27, 15, v36
	v_cndmask_b32_e32 v27, v28, v27, vcc
	v_cndmask_b32_e64 v28, 0, 1, vcc
	v_lshrrev_b64 v[19:20], v28, v[19:20]
; %bb.829:                              ;   in Loop: Header=BB0_350 Depth=3
	s_andn2_saveexec_b64 s[18:19], s[18:19]
; %bb.830:                              ;   in Loop: Header=BB0_350 Depth=3
	v_bfe_u32 v27, v19, 23, 1
; %bb.831:                              ;   in Loop: Header=BB0_350 Depth=3
	s_or_b64 exec, exec, s[18:19]
	v_lshrrev_b64 v[19:20], 21, v[19:20]
	v_cmp_gt_i32_e32 vcc, 32, v27
	v_cndmask_b32_e32 v20, 0, v20, vcc
	v_cndmask_b32_e32 v19, 3, v19, vcc
	v_cmp_eq_u64_e64 s[18:19], 0, v[19:20]
	v_min_i32_e32 v20, 31, v27
	v_lshlrev_b32_e32 v20, 2, v20
	v_cmp_eq_u32_e32 vcc, 0, v27
	v_and_b32_e32 v20, 0xfc, v20
	v_and_or_b32 v19, v19, 3, v20
	s_and_b64 s[18:19], vcc, s[18:19]
	v_cndmask_b32_e64 v19, v19, 0, s[18:19]
	v_or_b32_e32 v27, v19, v0
.LBB0_832:                              ;   in Loop: Header=BB0_350 Depth=3
	s_or_b64 exec, exec, s[78:79]
                                        ; implicit-def: $vgpr0
.LBB0_833:                              ;   in Loop: Header=BB0_350 Depth=3
	s_andn2_saveexec_b64 s[18:19], s[76:77]
; %bb.834:                              ;   in Loop: Header=BB0_350 Depth=3
	v_or_b32_e32 v27, 0x7b, v0
; %bb.835:                              ;   in Loop: Header=BB0_350 Depth=3
	s_or_b64 exec, exec, s[18:19]
                                        ; implicit-def: $vgpr28
                                        ; implicit-def: $vgpr19_vgpr20
.LBB0_836:                              ;   in Loop: Header=BB0_350 Depth=3
	s_andn2_saveexec_b64 s[18:19], s[74:75]
	s_cbranch_execz .LBB0_842
; %bb.837:                              ;   in Loop: Header=BB0_350 Depth=3
	v_cmp_ne_u64_e32 vcc, 0, v[19:20]
                                        ; implicit-def: $vgpr27
	s_and_saveexec_b64 s[74:75], vcc
	s_xor_b64 s[74:75], exec, s[74:75]
; %bb.838:                              ;   in Loop: Header=BB0_350 Depth=3
	v_or_b32_sdwa v27, v28, s50 dst_sel:DWORD dst_unused:UNUSED_PAD src0_sel:BYTE_3 src1_sel:DWORD
                                        ; implicit-def: $vgpr28
; %bb.839:                              ;   in Loop: Header=BB0_350 Depth=3
	s_andn2_saveexec_b64 s[74:75], s[74:75]
; %bb.840:                              ;   in Loop: Header=BB0_350 Depth=3
	v_cmp_lt_i32_e32 vcc, -1, v28
	v_cndmask_b32_e32 v27, v49, v11, vcc
; %bb.841:                              ;   in Loop: Header=BB0_350 Depth=3
	s_or_b64 exec, exec, s[74:75]
.LBB0_842:                              ;   in Loop: Header=BB0_350 Depth=3
	s_or_b64 exec, exec, s[18:19]
	v_mov_b32_e32 v20, v3
	v_cmp_lt_u64_e32 vcc, s[46:47], v[20:21]
	v_mov_b32_e32 v19, 0
	v_mov_b32_e32 v28, 0
	s_and_saveexec_b64 s[18:19], vcc
	s_cbranch_execz .LBB0_850
; %bb.843:                              ;   in Loop: Header=BB0_350 Depth=3
	v_lshrrev_b32_e32 v0, 24, v21
	v_cmp_ne_u32_e32 vcc, s48, v0
	v_bfrev_b32_e32 v28, 1
	s_and_saveexec_b64 s[74:75], vcc
	s_cbranch_execz .LBB0_849
; %bb.844:                              ;   in Loop: Header=BB0_350 Depth=3
	v_and_b32_e32 v28, 0x7c000000, v21
	v_bfe_u32 v36, v21, 24, 2
	v_cmp_ne_u32_e32 vcc, s52, v28
                                        ; implicit-def: $vgpr28
	s_and_saveexec_b64 s[76:77], vcc
	s_xor_b64 s[76:77], exec, s[76:77]
	s_cbranch_execz .LBB0_846
; %bb.845:                              ;   in Loop: Header=BB0_350 Depth=3
	v_ffbh_u32_e32 v28, v36
	v_min_u32_e32 v28, 32, v28
	v_subrev_u32_e32 v37, 29, v28
	v_bfe_u32 v20, v21, 26, 5
	v_lshlrev_b64 v[37:38], v37, v[0:1]
	v_sub_u32_e32 v0, 30, v28
	v_cmp_eq_u32_e32 vcc, 0, v20
	v_and_b32_e32 v28, 3, v37
	v_cndmask_b32_e32 v0, v20, v0, vcc
	v_and_b32_e32 v21, 0x80000000, v21
	v_cndmask_b32_e32 v20, v36, v28, vcc
	v_lshl_add_u32 v0, v0, 23, v21
	v_lshl_or_b32 v0, v20, 21, v0
	v_add_u32_e32 v28, 0x38000000, v0
                                        ; implicit-def: $vgpr36
                                        ; implicit-def: $vgpr20_vgpr21
.LBB0_846:                              ;   in Loop: Header=BB0_350 Depth=3
	s_andn2_saveexec_b64 s[76:77], s[76:77]
; %bb.847:                              ;   in Loop: Header=BB0_350 Depth=3
	v_cmp_lt_i64_e32 vcc, -1, v[20:21]
	v_cndmask_b32_e32 v0, v8, v54, vcc
	v_cmp_eq_u32_e32 vcc, 0, v36
	v_cndmask_b32_e32 v28, v55, v0, vcc
; %bb.848:                              ;   in Loop: Header=BB0_350 Depth=3
	s_or_b64 exec, exec, s[76:77]
.LBB0_849:                              ;   in Loop: Header=BB0_350 Depth=3
	s_or_b64 exec, exec, s[74:75]
.LBB0_850:                              ;   in Loop: Header=BB0_350 Depth=3
	s_or_b64 exec, exec, s[18:19]
	v_cmp_lt_u32_e32 vcc, s47, v2
	s_and_saveexec_b64 s[18:19], vcc
	s_cbranch_execz .LBB0_858
; %bb.851:                              ;   in Loop: Header=BB0_350 Depth=3
	v_lshrrev_b32_e32 v0, 24, v2
	v_cmp_ne_u32_e32 vcc, s48, v0
	v_bfrev_b32_e32 v19, 1
	s_and_saveexec_b64 s[74:75], vcc
	s_cbranch_execz .LBB0_857
; %bb.852:                              ;   in Loop: Header=BB0_350 Depth=3
	v_and_b32_e32 v19, 0x7c000000, v2
	v_bfe_u32 v20, v2, 24, 2
	v_cmp_ne_u32_e32 vcc, s52, v19
                                        ; implicit-def: $vgpr19
	s_and_saveexec_b64 s[76:77], vcc
	s_xor_b64 s[76:77], exec, s[76:77]
	s_cbranch_execz .LBB0_854
; %bb.853:                              ;   in Loop: Header=BB0_350 Depth=3
	v_ffbh_u32_e32 v21, v20
	v_min_u32_e32 v21, 32, v21
	v_subrev_u32_e32 v36, 29, v21
	v_bfe_u32 v19, v2, 26, 5
	v_lshlrev_b64 v[36:37], v36, v[0:1]
	v_sub_u32_e32 v0, 30, v21
	v_cmp_eq_u32_e32 vcc, 0, v19
	v_and_b32_e32 v21, 3, v36
	v_cndmask_b32_e32 v0, v19, v0, vcc
	v_and_b32_e32 v2, 0x80000000, v2
	v_cndmask_b32_e32 v19, v20, v21, vcc
	v_lshl_add_u32 v0, v0, 23, v2
	v_lshl_or_b32 v0, v19, 21, v0
	v_add_u32_e32 v19, 0x38000000, v0
                                        ; implicit-def: $vgpr20
.LBB0_854:                              ;   in Loop: Header=BB0_350 Depth=3
	s_andn2_saveexec_b64 s[76:77], s[76:77]
; %bb.855:                              ;   in Loop: Header=BB0_350 Depth=3
	v_cmp_lt_i32_e32 vcc, -1, v2
	v_cndmask_b32_e32 v0, v8, v54, vcc
	v_cmp_eq_u32_e32 vcc, 0, v20
	v_cndmask_b32_e32 v19, v55, v0, vcc
; %bb.856:                              ;   in Loop: Header=BB0_350 Depth=3
	s_or_b64 exec, exec, s[76:77]
.LBB0_857:                              ;   in Loop: Header=BB0_350 Depth=3
	s_or_b64 exec, exec, s[74:75]
.LBB0_858:                              ;   in Loop: Header=BB0_350 Depth=3
	s_or_b64 exec, exec, s[18:19]
	v_add_f32_e32 v20, v28, v19
	v_and_b32_e32 v36, 0x7f800000, v20
	v_mov_b32_e32 v37, v3
	v_cmp_ne_u64_e32 vcc, s[56:57], v[36:37]
	v_and_b32_e32 v2, 0x7fffff, v20
                                        ; implicit-def: $vgpr19
	s_and_saveexec_b64 s[18:19], vcc
	s_xor_b64 s[74:75], exec, s[18:19]
	s_cbranch_execz .LBB0_872
; %bb.859:                              ;   in Loop: Header=BB0_350 Depth=3
	v_and_b32_e32 v36, 0x7fffffff, v20
	v_mov_b32_e32 v37, v3
	v_cmp_gt_u64_e32 vcc, s[58:59], v[36:37]
	v_and_b32_sdwa v0, v20, s48 dst_sel:DWORD dst_unused:UNUSED_PAD src0_sel:BYTE_3 src1_sel:DWORD
                                        ; implicit-def: $vgpr19
	s_and_saveexec_b64 s[18:19], vcc
	s_xor_b64 s[76:77], exec, s[18:19]
	s_cbranch_execz .LBB0_869
; %bb.860:                              ;   in Loop: Header=BB0_350 Depth=3
	v_mov_b32_e32 v19, 0
	v_cmp_ne_u32_e32 vcc, 0, v20
	s_and_saveexec_b64 s[78:79], vcc
	s_cbranch_execz .LBB0_868
; %bb.861:                              ;   in Loop: Header=BB0_350 Depth=3
	v_bfe_u32 v28, v20, 23, 8
	v_cmp_gt_u32_e64 s[18:19], s49, v28
	v_sub_u32_e32 v19, 0x71, v28
	v_cmp_eq_u32_e32 vcc, 0, v28
	v_cndmask_b32_e64 v19, 0, v19, s[18:19]
	v_cndmask_b32_e32 v36, v19, v12, vcc
	v_or_b32_e32 v20, 0x800000, v2
	v_add_u32_e32 v19, 21, v36
	v_cndmask_b32_e32 v2, v20, v2, vcc
	v_lshlrev_b64 v[19:20], v19, -1
	v_add_u32_e32 v21, 20, v36
	v_lshlrev_b64 v[37:38], v21, 1
	v_bfi_b32 v20, v20, 0, 0
	v_bfi_b32 v19, v19, 0, v2
	v_cmp_eq_u64_e64 s[18:19], v[19:20], v[37:38]
	v_lshrrev_b64 v[19:20], v36, v[2:3]
	v_mov_b32_e32 v21, v20
	v_mov_b32_e32 v20, v19
	s_and_saveexec_b64 s[88:89], s[18:19]
; %bb.862:                              ;   in Loop: Header=BB0_350 Depth=3
	v_bfe_u32 v2, v19, 21, 1
	v_add_co_u32_e64 v2, s[18:19], v19, v2
	v_add_co_u32_e64 v20, s[18:19], -1, v2
; %bb.863:                              ;   in Loop: Header=BB0_350 Depth=3
	s_or_b64 exec, exec, s[88:89]
	v_add_u32_e32 v2, 0xffffff81, v28
	v_cndmask_b32_e32 v2, v2, v48, vcc
	v_lshrrev_b32_e32 v21, 23, v19
	v_add3_u32 v36, v36, v2, v21
	v_add_u32_e32 v28, 14, v36
	v_and_b32_e32 v2, 0x1fffff, v20
	v_add_u32_e32 v2, v2, v19
	v_cmp_ne_u32_e32 vcc, 0, v28
                                        ; implicit-def: $vgpr19_vgpr20
                                        ; implicit-def: $vgpr21
	s_and_saveexec_b64 s[18:19], vcc
	s_xor_b64 s[18:19], exec, s[18:19]
; %bb.864:                              ;   in Loop: Header=BB0_350 Depth=3
	v_cmp_lt_u64_e32 vcc, s[60:61], v[2:3]
	v_add_u32_e32 v19, 15, v36
	v_cndmask_b32_e32 v21, v28, v19, vcc
	v_cndmask_b32_e64 v19, 0, 1, vcc
	v_lshrrev_b64 v[19:20], v19, v[2:3]
; %bb.865:                              ;   in Loop: Header=BB0_350 Depth=3
	s_andn2_saveexec_b64 s[18:19], s[18:19]
; %bb.866:                              ;   in Loop: Header=BB0_350 Depth=3
	v_mov_b32_e32 v20, v3
	v_bfe_u32 v21, v2, 23, 1
	v_mov_b32_e32 v19, v2
; %bb.867:                              ;   in Loop: Header=BB0_350 Depth=3
	s_or_b64 exec, exec, s[18:19]
	v_lshrrev_b64 v[19:20], 21, v[19:20]
	v_cmp_gt_i32_e32 vcc, 32, v21
	v_cndmask_b32_e32 v20, 0, v20, vcc
	v_cndmask_b32_e32 v19, 3, v19, vcc
	v_min_i32_e32 v2, 31, v21
	v_cmp_eq_u64_e64 s[18:19], 0, v[19:20]
	v_lshlrev_b32_e32 v2, 2, v2
	v_cmp_eq_u32_e32 vcc, 0, v21
	v_and_b32_e32 v2, 0xfc, v2
	v_and_or_b32 v2, v19, 3, v2
	s_and_b64 s[18:19], vcc, s[18:19]
	v_cndmask_b32_e64 v2, v2, 0, s[18:19]
	v_or_b32_e32 v19, v2, v0
.LBB0_868:                              ;   in Loop: Header=BB0_350 Depth=3
	s_or_b64 exec, exec, s[78:79]
                                        ; implicit-def: $vgpr0
.LBB0_869:                              ;   in Loop: Header=BB0_350 Depth=3
	s_andn2_saveexec_b64 s[18:19], s[76:77]
; %bb.870:                              ;   in Loop: Header=BB0_350 Depth=3
	v_or_b32_e32 v19, 0x7b, v0
; %bb.871:                              ;   in Loop: Header=BB0_350 Depth=3
	s_or_b64 exec, exec, s[18:19]
                                        ; implicit-def: $vgpr20
.LBB0_872:                              ;   in Loop: Header=BB0_350 Depth=3
	s_andn2_saveexec_b64 s[18:19], s[74:75]
	s_cbranch_execz .LBB0_349
; %bb.873:                              ;   in Loop: Header=BB0_350 Depth=3
	v_cmp_ne_u64_e32 vcc, 0, v[2:3]
                                        ; implicit-def: $vgpr19
	s_and_saveexec_b64 s[74:75], vcc
	s_xor_b64 s[74:75], exec, s[74:75]
; %bb.874:                              ;   in Loop: Header=BB0_350 Depth=3
	v_or_b32_sdwa v19, v20, s50 dst_sel:DWORD dst_unused:UNUSED_PAD src0_sel:BYTE_3 src1_sel:DWORD
                                        ; implicit-def: $vgpr20
; %bb.875:                              ;   in Loop: Header=BB0_350 Depth=3
	s_andn2_saveexec_b64 s[74:75], s[74:75]
	s_cbranch_execz .LBB0_348
; %bb.876:                              ;   in Loop: Header=BB0_350 Depth=3
	v_cmp_lt_i32_e32 vcc, -1, v20
	v_cndmask_b32_e32 v19, v49, v11, vcc
	s_branch .LBB0_348
.LBB0_877:                              ;   in Loop: Header=BB0_305 Depth=2
	s_or_b64 exec, exec, s[72:73]
	buffer_load_dword v60, off, s[0:3], s32 offset:120 ; 4-byte Folded Reload
	buffer_load_dword v61, off, s[0:3], s32 offset:124 ; 4-byte Folded Reload
	;; [unrolled: 1-line block ×4, first 2 shown]
	s_or_b64 exec, exec, s[62:63]
	s_and_saveexec_b64 s[18:19], s[10:11]
	s_cbranch_execz .LBB0_342
.LBB0_878:                              ;   in Loop: Header=BB0_305 Depth=2
	s_and_saveexec_b64 s[62:63], s[40:41]
	s_xor_b64 s[62:63], exec, s[62:63]
	s_cbranch_execz .LBB0_893
; %bb.879:                              ;   in Loop: Header=BB0_305 Depth=2
	s_and_saveexec_b64 s[72:73], s[12:13]
	s_cbranch_execz .LBB0_892
; %bb.880:                              ;   in Loop: Header=BB0_305 Depth=2
	s_mov_b64 s[76:77], exec
	s_waitcnt vmcnt(0) lgkmcnt(0)
	v_mbcnt_lo_u32_b32 v0, s76, 0
	v_mbcnt_hi_u32_b32 v0, s77, v0
	v_cmp_eq_u32_e32 vcc, 0, v0
	buffer_wbinvl1_vol
	s_and_saveexec_b64 s[74:75], vcc
	s_cbranch_execz .LBB0_882
; %bb.881:                              ;   in Loop: Header=BB0_305 Depth=2
	s_bcnt1_i32_b64 s26, s[76:77]
	v_mov_b32_e32 v2, s26
	ds_add_u64 v0, v[2:3]
	s_trap 2
.LBB0_882:                              ;   in Loop: Header=BB0_305 Depth=2
	s_or_b64 exec, exec, s[74:75]
	s_trap 2
	ds_read_b64 v[19:20], v0
	s_waitcnt lgkmcnt(0)
	buffer_load_dword v0, off, s[0:3], s32 offset:132 ; 4-byte Folded Reload
	s_waitcnt vmcnt(0)
	v_add_co_u32_e32 v40, vcc, v40, v0
	v_addc_co_u32_e32 v41, vcc, 0, v41, vcc
	v_cmp_lt_u64_e32 vcc, v[19:20], v[40:41]
	s_and_saveexec_b64 s[74:75], vcc
	s_cbranch_execz .LBB0_891
; %bb.883:                              ;   in Loop: Header=BB0_305 Depth=2
	s_mov_b32 s26, 0
	s_mov_b64 s[76:77], 0
                                        ; implicit-def: $sgpr78_sgpr79
                                        ; implicit-def: $sgpr88_sgpr89
	s_branch .LBB0_885
.LBB0_884:                              ;   in Loop: Header=BB0_885 Depth=3
	s_or_b64 exec, exec, s[92:93]
	s_and_b64 s[90:91], exec, s[94:95]
	s_or_b64 s[76:77], s[90:91], s[76:77]
	s_andn2_b64 s[78:79], s[78:79], exec
	s_and_b64 s[90:91], s[88:89], exec
	s_or_b64 s[78:79], s[78:79], s[90:91]
	s_andn2_b64 exec, exec, s[76:77]
	s_cbranch_execz .LBB0_889
.LBB0_885:                              ;   Parent Loop BB0_32 Depth=1
                                        ;     Parent Loop BB0_305 Depth=2
                                        ; =>    This Inner Loop Header: Depth=3
	s_add_i32 s26, s26, 1
	s_cmpk_lg_i32 s26, 0x2710
	s_cselect_b64 s[90:91], -1, 0
	s_and_b64 vcc, exec, s[90:91]
	s_cbranch_vccz .LBB0_887
; %bb.886:                              ;   in Loop: Header=BB0_885 Depth=3
	s_mov_b64 s[94:95], -1
	s_or_b64 s[88:89], s[88:89], exec
	s_and_saveexec_b64 s[92:93], s[90:91]
	s_cbranch_execz .LBB0_884
	s_branch .LBB0_888
.LBB0_887:                              ;   in Loop: Header=BB0_885 Depth=3
	s_trap 2
	ds_read_b64 v[19:20], v0
	s_andn2_b64 s[90:91], s[90:91], exec
	s_mov_b32 s26, 0
	s_waitcnt lgkmcnt(0)
	flat_load_dword v0, v[19:20] glc
	s_waitcnt vmcnt(0) lgkmcnt(0)
	buffer_wbinvl1_vol
	v_cmp_eq_u32_e32 vcc, 0, v0
	s_and_b64 s[92:93], vcc, exec
	s_or_b64 s[90:91], s[90:91], s[92:93]
	s_mov_b64 s[94:95], -1
	s_or_b64 s[88:89], s[88:89], exec
	s_and_saveexec_b64 s[92:93], s[90:91]
	s_cbranch_execz .LBB0_884
.LBB0_888:                              ;   in Loop: Header=BB0_885 Depth=3
	s_sleep 1
	s_trap 2
	ds_read_b64 v[19:20], v0
	s_waitcnt lgkmcnt(0)
	s_andn2_b64 s[88:89], s[88:89], exec
	v_cmp_ge_u64_e32 vcc, v[19:20], v[40:41]
	s_orn2_b64 s[94:95], vcc, exec
	s_branch .LBB0_884
.LBB0_889:                              ;   in Loop: Header=BB0_305 Depth=2
	s_or_b64 exec, exec, s[76:77]
	s_and_saveexec_b64 s[76:77], s[78:79]
	s_xor_b64 s[76:77], exec, s[76:77]
	s_cbranch_execz .LBB0_891
; %bb.890:                              ;   in Loop: Header=BB0_305 Depth=2
	v_mov_b32_e32 v0, 1
	ds_write_b32 v0, v0
	s_trap 2
.LBB0_891:                              ;   in Loop: Header=BB0_305 Depth=2
	s_or_b64 exec, exec, s[74:75]
	;;#ASMSTART
	s_wakeup
	;;#ASMEND
.LBB0_892:                              ;   in Loop: Header=BB0_305 Depth=2
	s_or_b64 exec, exec, s[72:73]
.LBB0_893:                              ;   in Loop: Header=BB0_305 Depth=2
	s_andn2_saveexec_b64 s[62:63], s[62:63]
	s_cbranch_execz .LBB0_895
; %bb.894:                              ;   in Loop: Header=BB0_305 Depth=2
	s_waitcnt vmcnt(0) lgkmcnt(0)
	buffer_wbinvl1_vol
	s_barrier
.LBB0_895:                              ;   in Loop: Header=BB0_305 Depth=2
	s_or_b64 exec, exec, s[62:63]
	s_or_b64 exec, exec, s[18:19]
	s_and_saveexec_b64 s[18:19], s[14:15]
	s_cbranch_execnz .LBB0_343
	s_branch .LBB0_344
.LBB0_896:                              ;   in Loop: Header=BB0_32 Depth=1
	v_mov_b32_e32 v21, v46
	v_mov_b32_e32 v22, v47
	s_and_saveexec_b64 s[18:19], s[16:17]
	s_cbranch_execnz .LBB0_898
	s_branch .LBB0_1447
.LBB0_897:                              ;   in Loop: Header=BB0_32 Depth=1
	buffer_load_dword v23, off, s[0:3], s32 offset:196 ; 4-byte Folded Reload
	buffer_load_dword v24, off, s[0:3], s32 offset:200 ; 4-byte Folded Reload
	v_mov_b32_e32 v21, v46
	v_mov_b32_e32 v22, v47
	s_and_saveexec_b64 s[18:19], s[16:17]
	s_cbranch_execz .LBB0_1447
.LBB0_898:                              ;   in Loop: Header=BB0_32 Depth=1
	buffer_store_dword v43, off, s[0:3], s32 offset:68 ; 4-byte Folded Spill
	s_nop 0
	buffer_store_dword v44, off, s[0:3], s32 offset:72 ; 4-byte Folded Spill
	s_waitcnt lgkmcnt(0)
	flat_load_dword v0, v[60:61]
	buffer_load_dword v17, off, s[0:3], s32 offset:204 ; 4-byte Folded Reload
	buffer_load_dword v18, off, s[0:3], s32 offset:208 ; 4-byte Folded Reload
	;; [unrolled: 1-line block ×5, first 2 shown]
	v_add_u32_e32 v59, 1, v34
	s_mov_b64 s[62:63], 0
	s_waitcnt vmcnt(0) lgkmcnt(0)
	v_ashrrev_i32_e32 v2, 31, v0
	v_mov_b32_e32 v17, v19
	v_mov_b32_e32 v18, v20
	buffer_load_dword v19, off, s[0:3], s32 offset:88 ; 4-byte Folded Reload
	v_add_co_u32_e32 v17, vcc, v17, v23
	v_addc_co_u32_e32 v18, vcc, v18, v24, vcc
	v_mul_lo_u32 v10, v10, v0
	s_waitcnt vmcnt(0)
	v_mul_lo_u32 v2, v19, v2
	v_mad_u64_u32 v[17:18], s[16:17], v19, v0, v[17:18]
	v_add3_u32 v0, v10, v18, v2
	buffer_load_dword v2, off, s[0:3], s32 offset:152 ; 4-byte Folded Reload
	s_waitcnt vmcnt(0)
	v_add_co_u32_e32 v26, vcc, v17, v2
	v_addc_co_u32_e32 v42, vcc, 0, v0, vcc
	buffer_load_dword v0, off, s[0:3], s32 offset:228 ; 4-byte Folded Reload
	s_waitcnt vmcnt(0)
	v_add_co_u32_e32 v46, vcc, v0, v23
	buffer_load_dword v0, off, s[0:3], s32 offset:232 ; 4-byte Folded Reload
	buffer_load_dword v19, off, s[0:3], s32 offset:104 ; 4-byte Folded Reload
	;; [unrolled: 1-line block ×5, first 2 shown]
	s_waitcnt vmcnt(4)
	v_addc_co_u32_e32 v47, vcc, v0, v24, vcc
	v_and_b32_e32 v0, 7, v34
	v_mul_lo_u32 v17, v0, s36
	v_ashrrev_i32_e32 v18, 31, v17
	v_lshlrev_b64 v[17:18], 4, v[17:18]
	s_waitcnt vmcnt(3)
	v_add_co_u32_e32 v43, vcc, v19, v17
	s_waitcnt vmcnt(2)
	v_addc_co_u32_e32 v58, vcc, v20, v18, vcc
	s_branch .LBB0_900
.LBB0_899:                              ;   in Loop: Header=BB0_900 Depth=2
	v_add_co_u32_e32 v26, vcc, v26, v25
	v_addc_co_u32_e32 v42, vcc, 0, v42, vcc
	v_add_co_u32_e32 v46, vcc, v46, v25
	v_addc_co_u32_e32 v47, vcc, 0, v47, vcc
	v_sub_u32_e32 v4, v4, v25
	v_cmp_gt_i32_e32 vcc, 1, v4
	s_or_b64 s[62:63], vcc, s[62:63]
	v_add_u32_e32 v56, v56, v1
	s_andn2_b64 exec, exec, s[62:63]
	s_cbranch_execz .LBB0_1446
.LBB0_900:                              ;   Parent Loop BB0_32 Depth=1
                                        ; =>  This Loop Header: Depth=2
                                        ;       Child Loop BB0_908 Depth 3
	v_and_b32_e32 v17, -4, v26
	v_mov_b32_e32 v18, v42
	global_load_dword v0, v[17:18], off glc slc
	v_min_u32_e32 v2, 8, v4
	v_and_b32_e32 v10, 3, v26
	v_add_u32_e32 v2, v10, v2
	v_cmp_lt_u32_e32 vcc, 4, v2
	v_mov_b32_e32 v24, 0
	v_mov_b32_e32 v32, 0
	s_and_saveexec_b64 s[16:17], vcc
	s_cbranch_execz .LBB0_902
; %bb.901:                              ;   in Loop: Header=BB0_900 Depth=2
	global_load_dword v32, v[17:18], off offset:4 glc slc
.LBB0_902:                              ;   in Loop: Header=BB0_900 Depth=2
	s_or_b64 exec, exec, s[16:17]
	v_cmp_lt_u64_e32 vcc, 8, v[2:3]
	s_and_saveexec_b64 s[16:17], vcc
	s_cbranch_execz .LBB0_904
; %bb.903:                              ;   in Loop: Header=BB0_900 Depth=2
	global_load_dword v24, v[17:18], off offset:8 glc slc
.LBB0_904:                              ;   in Loop: Header=BB0_900 Depth=2
	s_or_b64 exec, exec, s[16:17]
	s_waitcnt vmcnt(0)
	v_mov_b32_e32 v57, v3
	v_lshlrev_b64 v[17:18], 4, v[56:57]
	v_add_co_u32_e32 v29, vcc, v43, v17
	v_addc_co_u32_e32 v30, vcc, v58, v18, vcc
	global_load_dwordx4 v[17:20], v[29:30], off glc slc
	v_cmp_eq_u32_e32 vcc, 0, v9
	v_mov_b32_e32 v9, 1
	s_and_saveexec_b64 s[72:73], vcc
	s_cbranch_execz .LBB0_916
; %bb.905:                              ;   in Loop: Header=BB0_900 Depth=2
	s_waitcnt vmcnt(0)
	v_cmp_ne_u32_e32 vcc, v59, v18
	v_cmp_ne_u32_e64 s[16:17], v59, v20
	s_or_b64 s[16:17], vcc, s[16:17]
	v_mov_b32_e32 v9, 0
	s_and_saveexec_b64 s[74:75], s[16:17]
	s_cbranch_execz .LBB0_915
; %bb.906:                              ;   in Loop: Header=BB0_900 Depth=2
	s_mov_b32 s26, 1
	s_mov_b64 s[78:79], 0
                                        ; implicit-def: $sgpr76_sgpr77
                                        ; implicit-def: $sgpr88_sgpr89
	s_branch .LBB0_908
.LBB0_907:                              ;   in Loop: Header=BB0_908 Depth=3
	s_or_b64 exec, exec, s[92:93]
	s_and_b64 s[16:17], exec, s[16:17]
	s_or_b64 s[78:79], s[16:17], s[78:79]
	s_andn2_b64 s[16:17], s[76:77], exec
	s_and_b64 s[76:77], s[88:89], exec
	s_or_b64 s[76:77], s[16:17], s[76:77]
	s_andn2_b64 exec, exec, s[78:79]
	s_cbranch_execz .LBB0_912
.LBB0_908:                              ;   Parent Loop BB0_32 Depth=1
                                        ;     Parent Loop BB0_900 Depth=2
                                        ; =>    This Inner Loop Header: Depth=3
	global_load_dwordx4 v[17:20], v[29:30], off glc slc
	s_add_i32 s26, s26, 1
	s_mov_b64 s[16:17], -1
	s_cmpk_lg_i32 s26, 0x2710
	s_mov_b64 s[90:91], -1
                                        ; implicit-def: $vgpr2
	s_cbranch_scc0 .LBB0_910
; %bb.909:                              ;   in Loop: Header=BB0_908 Depth=3
	s_or_b64 s[88:89], s[88:89], exec
	s_and_saveexec_b64 s[92:93], s[90:91]
	s_cbranch_execz .LBB0_907
	s_branch .LBB0_911
.LBB0_910:                              ;   in Loop: Header=BB0_908 Depth=3
	s_trap 2
	ds_read_b64 v[9:10], v0
	s_mov_b32 s26, 0
	s_waitcnt vmcnt(0) lgkmcnt(0)
	flat_load_dword v2, v[9:10] glc
	s_waitcnt vmcnt(0) lgkmcnt(0)
	buffer_wbinvl1_vol
	v_cmp_eq_u32_e32 vcc, 0, v2
	s_orn2_b64 s[90:91], vcc, exec
	s_or_b64 s[88:89], s[88:89], exec
	s_and_saveexec_b64 s[92:93], s[90:91]
	s_cbranch_execz .LBB0_907
.LBB0_911:                              ;   in Loop: Header=BB0_908 Depth=3
	s_waitcnt vmcnt(0)
	v_cmp_eq_u32_e32 vcc, v59, v18
	v_cmp_eq_u32_e64 s[16:17], v59, v20
	s_and_b64 s[16:17], vcc, s[16:17]
	s_andn2_b64 s[88:89], s[88:89], exec
	s_orn2_b64 s[16:17], s[16:17], exec
	s_branch .LBB0_907
.LBB0_912:                              ;   in Loop: Header=BB0_900 Depth=2
	s_or_b64 exec, exec, s[78:79]
	v_mov_b32_e32 v9, 0
	s_and_saveexec_b64 s[16:17], s[76:77]
	s_xor_b64 s[16:17], exec, s[16:17]
	s_cbranch_execz .LBB0_914
; %bb.913:                              ;   in Loop: Header=BB0_900 Depth=2
	v_mov_b32_e32 v9, 1
	ds_write_b32 v0, v2
	s_trap 2
.LBB0_914:                              ;   in Loop: Header=BB0_900 Depth=2
	s_or_b64 exec, exec, s[16:17]
.LBB0_915:                              ;   in Loop: Header=BB0_900 Depth=2
	s_or_b64 exec, exec, s[74:75]
.LBB0_916:                              ;   in Loop: Header=BB0_900 Depth=2
	s_or_b64 exec, exec, s[72:73]
	v_lshlrev_b32_e32 v30, 3, v26
	s_waitcnt vmcnt(0)
	v_alignbit_b32 v2, v32, v0, v30
	v_cmp_ne_u16_sdwa s[72:73], v2, v3 src0_sel:BYTE_0 src1_sel:DWORD
	v_mov_b32_e32 v0, 0
	s_and_saveexec_b64 s[16:17], s[72:73]
	s_cbranch_execz .LBB0_924
; %bb.917:                              ;   in Loop: Header=BB0_900 Depth=2
	v_cmp_ne_u16_sdwa s[74:75], sext(v2), s38 src0_sel:BYTE_0 src1_sel:DWORD
	v_bfrev_b32_e32 v0, 1
	s_and_saveexec_b64 s[72:73], s[74:75]
	s_cbranch_execz .LBB0_923
; %bb.918:                              ;   in Loop: Header=BB0_900 Depth=2
	v_and_b32_e32 v0, 0x7c, v2
	v_and_b32_e32 v10, 3, v2
	v_cmp_ne_u32_e32 vcc, s39, v0
                                        ; implicit-def: $vgpr0
	s_and_saveexec_b64 s[74:75], vcc
	s_xor_b64 s[74:75], exec, s[74:75]
	s_cbranch_execz .LBB0_920
; %bb.919:                              ;   in Loop: Header=BB0_900 Depth=2
	v_ffbh_u32_e32 v23, v10
	v_min_u32_e32 v23, 32, v23
	v_bfe_u32 v0, v2, 2, 5
	v_subrev_u32_e32 v27, 29, v23
	v_lshlrev_b64 v[27:28], v27, v[2:3]
	v_sub_u32_e32 v23, 30, v23
	v_cmp_eq_u32_e32 vcc, 0, v0
	v_cndmask_b32_e32 v0, v0, v23, vcc
	v_lshlrev_b32_e32 v23, 24, v2
	v_and_b32_e32 v27, 3, v27
	v_and_b32_e32 v23, 0x80000000, v23
	v_cndmask_b32_e32 v10, v10, v27, vcc
	v_lshl_add_u32 v0, v0, 23, v23
	v_lshl_or_b32 v0, v10, 21, v0
	v_add_u32_e32 v0, 0x38000000, v0
                                        ; implicit-def: $vgpr10
.LBB0_920:                              ;   in Loop: Header=BB0_900 Depth=2
	s_andn2_saveexec_b64 s[74:75], s[74:75]
; %bb.921:                              ;   in Loop: Header=BB0_900 Depth=2
	v_cmp_gt_i16_sdwa vcc, sext(v2), v7 src0_sel:BYTE_0 src1_sel:DWORD
	v_cndmask_b32_e32 v0, v8, v54, vcc
	v_cmp_eq_u32_e32 vcc, 0, v10
	v_cndmask_b32_e32 v0, v55, v0, vcc
; %bb.922:                              ;   in Loop: Header=BB0_900 Depth=2
	s_or_b64 exec, exec, s[74:75]
.LBB0_923:                              ;   in Loop: Header=BB0_900 Depth=2
	s_or_b64 exec, exec, s[72:73]
.LBB0_924:                              ;   in Loop: Header=BB0_900 Depth=2
	s_or_b64 exec, exec, s[16:17]
	v_mul_f32_e32 v23, v62, v0
	v_and_b32_e32 v28, 0x7f800000, v23
	v_mov_b32_e32 v29, v3
	v_cmp_ne_u64_e32 vcc, s[56:57], v[28:29]
	v_and_b32_e32 v27, 0x7fffff, v23
	v_mov_b32_e32 v28, v3
                                        ; implicit-def: $vgpr10
	s_and_saveexec_b64 s[16:17], vcc
	s_xor_b64 s[72:73], exec, s[16:17]
	s_cbranch_execz .LBB0_938
; %bb.925:                              ;   in Loop: Header=BB0_900 Depth=2
	v_and_b32_e32 v36, 0x7fffffff, v23
	v_mov_b32_e32 v37, v3
	v_cmp_gt_u64_e32 vcc, s[58:59], v[36:37]
	v_and_b32_sdwa v0, v23, s48 dst_sel:DWORD dst_unused:UNUSED_PAD src0_sel:BYTE_3 src1_sel:DWORD
                                        ; implicit-def: $vgpr10
	s_and_saveexec_b64 s[16:17], vcc
	s_xor_b64 s[74:75], exec, s[16:17]
	s_cbranch_execz .LBB0_935
; %bb.926:                              ;   in Loop: Header=BB0_900 Depth=2
	v_mov_b32_e32 v10, 0
	v_cmp_ne_u32_e32 vcc, 0, v23
	s_and_saveexec_b64 s[76:77], vcc
	s_cbranch_execz .LBB0_934
; %bb.927:                              ;   in Loop: Header=BB0_900 Depth=2
	v_bfe_u32 v10, v23, 23, 8
	v_cmp_gt_u32_e64 s[16:17], s49, v10
	v_sub_u32_e32 v23, 0x71, v10
	v_cmp_eq_u32_e32 vcc, 0, v10
	v_cndmask_b32_e64 v23, 0, v23, s[16:17]
	v_or_b32_e32 v29, 0x800000, v27
	v_cndmask_b32_e32 v23, v23, v12, vcc
	v_cndmask_b32_e32 v27, v29, v27, vcc
	v_add_u32_e32 v29, 21, v23
	v_lshlrev_b64 v[36:37], v29, -1
	v_add_u32_e32 v29, 20, v23
	v_bfi_b32 v36, v36, 0, v27
	v_lshlrev_b64 v[38:39], v29, 1
	v_lshrrev_b64 v[27:28], v23, v[27:28]
	v_bfi_b32 v37, v37, 0, 0
	v_cmp_eq_u64_e64 s[16:17], v[36:37], v[38:39]
	v_mov_b32_e32 v29, v28
	v_mov_b32_e32 v28, v27
	s_and_saveexec_b64 s[78:79], s[16:17]
; %bb.928:                              ;   in Loop: Header=BB0_900 Depth=2
	v_bfe_u32 v28, v27, 21, 1
	v_add_co_u32_e64 v28, s[16:17], v27, v28
	v_add_co_u32_e64 v28, s[16:17], -1, v28
; %bb.929:                              ;   in Loop: Header=BB0_900 Depth=2
	s_or_b64 exec, exec, s[78:79]
	v_add_u32_e32 v10, 0xffffff81, v10
	v_cndmask_b32_e32 v10, v10, v48, vcc
	v_lshrrev_b32_e32 v29, 23, v27
	v_add3_u32 v29, v23, v10, v29
	v_add_u32_e32 v23, 14, v29
	v_and_b32_e32 v10, 0x1fffff, v28
	v_add_u32_e32 v27, v10, v27
	v_mov_b32_e32 v28, v3
	v_cmp_ne_u32_e32 vcc, 0, v23
                                        ; implicit-def: $vgpr10
	s_and_saveexec_b64 s[16:17], vcc
	s_xor_b64 s[16:17], exec, s[16:17]
; %bb.930:                              ;   in Loop: Header=BB0_900 Depth=2
	v_cmp_lt_u64_e32 vcc, s[60:61], v[27:28]
	v_add_u32_e32 v10, 15, v29
	v_cndmask_b32_e32 v10, v23, v10, vcc
	v_cndmask_b32_e64 v23, 0, 1, vcc
	v_lshrrev_b64 v[27:28], v23, v[27:28]
; %bb.931:                              ;   in Loop: Header=BB0_900 Depth=2
	s_andn2_saveexec_b64 s[16:17], s[16:17]
; %bb.932:                              ;   in Loop: Header=BB0_900 Depth=2
	v_bfe_u32 v10, v27, 23, 1
; %bb.933:                              ;   in Loop: Header=BB0_900 Depth=2
	s_or_b64 exec, exec, s[16:17]
	v_lshrrev_b64 v[27:28], 21, v[27:28]
	v_cmp_gt_i32_e32 vcc, 32, v10
	v_cndmask_b32_e32 v28, 0, v28, vcc
	v_cndmask_b32_e32 v27, 3, v27, vcc
	v_cmp_eq_u32_e32 vcc, 0, v10
	v_min_i32_e32 v10, 31, v10
	v_cmp_eq_u64_e64 s[16:17], 0, v[27:28]
	v_lshlrev_b32_e32 v10, 2, v10
	v_and_b32_e32 v10, 0xfc, v10
	v_and_or_b32 v10, v27, 3, v10
	s_and_b64 s[16:17], vcc, s[16:17]
	v_cndmask_b32_e64 v10, v10, 0, s[16:17]
	v_or_b32_e32 v10, v10, v0
.LBB0_934:                              ;   in Loop: Header=BB0_900 Depth=2
	s_or_b64 exec, exec, s[76:77]
                                        ; implicit-def: $vgpr0
.LBB0_935:                              ;   in Loop: Header=BB0_900 Depth=2
	s_andn2_saveexec_b64 s[16:17], s[74:75]
; %bb.936:                              ;   in Loop: Header=BB0_900 Depth=2
	v_or_b32_e32 v10, 0x7b, v0
; %bb.937:                              ;   in Loop: Header=BB0_900 Depth=2
	s_or_b64 exec, exec, s[16:17]
                                        ; implicit-def: $vgpr23
                                        ; implicit-def: $vgpr27_vgpr28
.LBB0_938:                              ;   in Loop: Header=BB0_900 Depth=2
	s_andn2_saveexec_b64 s[16:17], s[72:73]
	s_cbranch_execz .LBB0_944
; %bb.939:                              ;   in Loop: Header=BB0_900 Depth=2
	v_cmp_ne_u64_e32 vcc, 0, v[27:28]
                                        ; implicit-def: $vgpr10
	s_and_saveexec_b64 s[72:73], vcc
	s_xor_b64 s[72:73], exec, s[72:73]
; %bb.940:                              ;   in Loop: Header=BB0_900 Depth=2
	v_or_b32_sdwa v10, v23, s50 dst_sel:DWORD dst_unused:UNUSED_PAD src0_sel:BYTE_3 src1_sel:DWORD
                                        ; implicit-def: $vgpr23
; %bb.941:                              ;   in Loop: Header=BB0_900 Depth=2
	s_andn2_saveexec_b64 s[72:73], s[72:73]
; %bb.942:                              ;   in Loop: Header=BB0_900 Depth=2
	v_cmp_lt_i32_e32 vcc, -1, v23
	v_cndmask_b32_e32 v10, v49, v11, vcc
; %bb.943:                              ;   in Loop: Header=BB0_900 Depth=2
	s_or_b64 exec, exec, s[72:73]
.LBB0_944:                              ;   in Loop: Header=BB0_900 Depth=2
	s_or_b64 exec, exec, s[16:17]
	v_lshrrev_b16_e32 v27, 8, v2
	v_cmp_ne_u16_e32 vcc, 0, v27
	v_mov_b32_e32 v0, 0
	s_and_saveexec_b64 s[16:17], vcc
	s_cbranch_execz .LBB0_952
; %bb.945:                              ;   in Loop: Header=BB0_900 Depth=2
	v_cmp_ne_u16_e32 vcc, s48, v27
	v_bfrev_b32_e32 v0, 1
	s_and_saveexec_b64 s[72:73], vcc
	s_cbranch_execz .LBB0_951
; %bb.946:                              ;   in Loop: Header=BB0_900 Depth=2
	v_and_b32_e32 v0, 0x7c, v27
	v_and_b32_e32 v23, 3, v27
	v_cmp_ne_u32_e32 vcc, s39, v0
                                        ; implicit-def: $vgpr0
	s_and_saveexec_b64 s[74:75], vcc
	s_xor_b64 s[74:75], exec, s[74:75]
	s_cbranch_execz .LBB0_948
; %bb.947:                              ;   in Loop: Header=BB0_900 Depth=2
	v_ffbh_u32_e32 v29, v23
	v_min_u32_e32 v29, 32, v29
	v_mov_b32_e32 v28, v3
	v_subrev_u32_e32 v31, 29, v29
	v_bfe_u32 v0, v27, 2, 5
	v_lshlrev_b64 v[27:28], v31, v[27:28]
	v_cmp_eq_u32_e32 vcc, 0, v0
	v_and_b32_e32 v27, 3, v27
	v_sub_u32_e32 v28, 30, v29
	v_cndmask_b32_e32 v23, v23, v27, vcc
	v_lshlrev_b32_e32 v27, 16, v2
	v_cndmask_b32_e32 v0, v0, v28, vcc
	v_and_b32_e32 v27, 0x80000000, v27
	v_lshl_add_u32 v0, v0, 23, v27
	v_lshl_or_b32 v0, v23, 21, v0
	v_add_u32_e32 v0, 0x38000000, v0
                                        ; implicit-def: $vgpr23
.LBB0_948:                              ;   in Loop: Header=BB0_900 Depth=2
	s_andn2_saveexec_b64 s[74:75], s[74:75]
; %bb.949:                              ;   in Loop: Header=BB0_900 Depth=2
	v_cmp_lt_i16_e32 vcc, -1, v2
	v_cndmask_b32_e32 v0, v8, v54, vcc
	v_cmp_eq_u32_e32 vcc, 0, v23
	v_cndmask_b32_e32 v0, v55, v0, vcc
; %bb.950:                              ;   in Loop: Header=BB0_900 Depth=2
	s_or_b64 exec, exec, s[74:75]
.LBB0_951:                              ;   in Loop: Header=BB0_900 Depth=2
	s_or_b64 exec, exec, s[72:73]
.LBB0_952:                              ;   in Loop: Header=BB0_900 Depth=2
	s_or_b64 exec, exec, s[16:17]
	v_mul_f32_e32 v29, v62, v0
	v_and_b32_e32 v36, 0x7f800000, v29
	v_mov_b32_e32 v37, v3
	v_cmp_ne_u64_e32 vcc, s[56:57], v[36:37]
	v_and_b32_e32 v27, 0x7fffff, v29
	v_mov_b32_e32 v28, v3
                                        ; implicit-def: $vgpr23
	s_and_saveexec_b64 s[16:17], vcc
	s_xor_b64 s[72:73], exec, s[16:17]
	s_cbranch_execz .LBB0_966
; %bb.953:                              ;   in Loop: Header=BB0_900 Depth=2
	v_and_b32_e32 v36, 0x7fffffff, v29
	v_mov_b32_e32 v37, v3
	v_cmp_gt_u64_e32 vcc, s[58:59], v[36:37]
	v_and_b32_sdwa v0, v29, s48 dst_sel:DWORD dst_unused:UNUSED_PAD src0_sel:BYTE_3 src1_sel:DWORD
                                        ; implicit-def: $vgpr23
	s_and_saveexec_b64 s[16:17], vcc
	s_xor_b64 s[74:75], exec, s[16:17]
	s_cbranch_execz .LBB0_963
; %bb.954:                              ;   in Loop: Header=BB0_900 Depth=2
	v_mov_b32_e32 v23, 0
	v_cmp_ne_u32_e32 vcc, 0, v29
	s_and_saveexec_b64 s[76:77], vcc
	s_cbranch_execz .LBB0_962
; %bb.955:                              ;   in Loop: Header=BB0_900 Depth=2
	v_bfe_u32 v23, v29, 23, 8
	v_cmp_gt_u32_e64 s[16:17], s49, v23
	v_sub_u32_e32 v29, 0x71, v23
	v_cmp_eq_u32_e32 vcc, 0, v23
	v_cndmask_b32_e64 v29, 0, v29, s[16:17]
	v_cndmask_b32_e32 v31, v29, v12, vcc
	v_add_u32_e32 v29, 21, v31
	v_or_b32_e32 v33, 0x800000, v27
	v_lshlrev_b64 v[36:37], v29, -1
	v_cndmask_b32_e32 v27, v33, v27, vcc
	v_add_u32_e32 v29, 20, v31
	v_bfi_b32 v36, v36, 0, v27
	v_lshlrev_b64 v[38:39], v29, 1
	v_lshrrev_b64 v[27:28], v31, v[27:28]
	v_bfi_b32 v37, v37, 0, 0
	v_cmp_eq_u64_e64 s[16:17], v[36:37], v[38:39]
	v_mov_b32_e32 v29, v28
	v_mov_b32_e32 v28, v27
	s_and_saveexec_b64 s[78:79], s[16:17]
; %bb.956:                              ;   in Loop: Header=BB0_900 Depth=2
	v_bfe_u32 v28, v27, 21, 1
	v_add_co_u32_e64 v28, s[16:17], v27, v28
	v_add_co_u32_e64 v28, s[16:17], -1, v28
; %bb.957:                              ;   in Loop: Header=BB0_900 Depth=2
	s_or_b64 exec, exec, s[78:79]
	v_add_u32_e32 v23, 0xffffff81, v23
	v_cndmask_b32_e32 v23, v23, v48, vcc
	v_lshrrev_b32_e32 v29, 23, v27
	v_add3_u32 v31, v31, v23, v29
	v_add_u32_e32 v29, 14, v31
	v_and_b32_e32 v23, 0x1fffff, v28
	v_add_u32_e32 v27, v23, v27
	v_mov_b32_e32 v28, v3
	v_cmp_ne_u32_e32 vcc, 0, v29
                                        ; implicit-def: $vgpr23
	s_and_saveexec_b64 s[16:17], vcc
	s_xor_b64 s[16:17], exec, s[16:17]
; %bb.958:                              ;   in Loop: Header=BB0_900 Depth=2
	v_cmp_lt_u64_e32 vcc, s[60:61], v[27:28]
	v_add_u32_e32 v23, 15, v31
	v_cndmask_b32_e32 v23, v29, v23, vcc
	v_cndmask_b32_e64 v29, 0, 1, vcc
	v_lshrrev_b64 v[27:28], v29, v[27:28]
; %bb.959:                              ;   in Loop: Header=BB0_900 Depth=2
	s_andn2_saveexec_b64 s[16:17], s[16:17]
; %bb.960:                              ;   in Loop: Header=BB0_900 Depth=2
	v_bfe_u32 v23, v27, 23, 1
; %bb.961:                              ;   in Loop: Header=BB0_900 Depth=2
	s_or_b64 exec, exec, s[16:17]
	v_lshrrev_b64 v[27:28], 21, v[27:28]
	v_cmp_gt_i32_e32 vcc, 32, v23
	v_cndmask_b32_e32 v28, 0, v28, vcc
	v_cndmask_b32_e32 v27, 3, v27, vcc
	v_cmp_eq_u32_e32 vcc, 0, v23
	v_min_i32_e32 v23, 31, v23
	v_cmp_eq_u64_e64 s[16:17], 0, v[27:28]
	v_lshlrev_b32_e32 v23, 2, v23
	v_and_b32_e32 v23, 0xfc, v23
	v_and_or_b32 v23, v27, 3, v23
	s_and_b64 s[16:17], vcc, s[16:17]
	v_cndmask_b32_e64 v23, v23, 0, s[16:17]
	v_or_b32_e32 v23, v23, v0
.LBB0_962:                              ;   in Loop: Header=BB0_900 Depth=2
	s_or_b64 exec, exec, s[76:77]
                                        ; implicit-def: $vgpr0
.LBB0_963:                              ;   in Loop: Header=BB0_900 Depth=2
	s_andn2_saveexec_b64 s[16:17], s[74:75]
; %bb.964:                              ;   in Loop: Header=BB0_900 Depth=2
	v_or_b32_e32 v23, 0x7b, v0
; %bb.965:                              ;   in Loop: Header=BB0_900 Depth=2
	s_or_b64 exec, exec, s[16:17]
                                        ; implicit-def: $vgpr29
                                        ; implicit-def: $vgpr27_vgpr28
.LBB0_966:                              ;   in Loop: Header=BB0_900 Depth=2
	s_andn2_saveexec_b64 s[16:17], s[72:73]
	s_cbranch_execz .LBB0_972
; %bb.967:                              ;   in Loop: Header=BB0_900 Depth=2
	v_cmp_ne_u64_e32 vcc, 0, v[27:28]
                                        ; implicit-def: $vgpr23
	s_and_saveexec_b64 s[72:73], vcc
	s_xor_b64 s[72:73], exec, s[72:73]
; %bb.968:                              ;   in Loop: Header=BB0_900 Depth=2
	v_or_b32_sdwa v23, v29, s50 dst_sel:DWORD dst_unused:UNUSED_PAD src0_sel:BYTE_3 src1_sel:DWORD
                                        ; implicit-def: $vgpr29
; %bb.969:                              ;   in Loop: Header=BB0_900 Depth=2
	s_andn2_saveexec_b64 s[72:73], s[72:73]
; %bb.970:                              ;   in Loop: Header=BB0_900 Depth=2
	v_cmp_lt_i32_e32 vcc, -1, v29
	v_cndmask_b32_e32 v23, v49, v11, vcc
; %bb.971:                              ;   in Loop: Header=BB0_900 Depth=2
	s_or_b64 exec, exec, s[72:73]
.LBB0_972:                              ;   in Loop: Header=BB0_900 Depth=2
	s_or_b64 exec, exec, s[16:17]
	v_and_b32_sdwa v28, v2, s37 dst_sel:DWORD dst_unused:UNUSED_PAD src0_sel:WORD_1 src1_sel:DWORD
	v_lshrrev_b32_e32 v27, 16, v2
	v_cmp_ne_u16_e32 vcc, 0, v28
	v_mov_b32_e32 v0, 0
	s_and_saveexec_b64 s[16:17], vcc
	s_cbranch_execz .LBB0_980
; %bb.973:                              ;   in Loop: Header=BB0_900 Depth=2
	v_cmp_ne_u16_e32 vcc, s48, v28
	v_bfrev_b32_e32 v0, 1
	s_and_saveexec_b64 s[72:73], vcc
	s_cbranch_execz .LBB0_979
; %bb.974:                              ;   in Loop: Header=BB0_900 Depth=2
	v_and_b32_e32 v0, 0x7c0000, v2
	v_bfe_u32 v28, v2, 16, 2
	v_cmp_ne_u32_e32 vcc, s51, v0
                                        ; implicit-def: $vgpr0
	s_and_saveexec_b64 s[74:75], vcc
	s_xor_b64 s[74:75], exec, s[74:75]
	s_cbranch_execz .LBB0_976
; %bb.975:                              ;   in Loop: Header=BB0_900 Depth=2
	v_ffbh_u32_e32 v29, v28
	v_min_u32_e32 v29, 32, v29
	v_lshrrev_b32_e32 v0, 16, v2
	v_subrev_u32_e32 v31, 29, v29
	v_lshlrev_b64 v[36:37], v31, v[0:1]
	v_bfe_u32 v27, v2, 18, 5
	v_sub_u32_e32 v0, 30, v29
	v_and_b32_e32 v29, 3, v36
	v_cmp_eq_u32_e32 vcc, 0, v27
	v_cndmask_b32_e32 v0, v27, v0, vcc
	v_cndmask_b32_e32 v27, v28, v29, vcc
	v_lshlrev_b32_e32 v28, 8, v2
	v_and_b32_e32 v28, 0x80000000, v28
	v_lshl_add_u32 v0, v0, 23, v28
	v_lshl_or_b32 v0, v27, 21, v0
	v_add_u32_e32 v0, 0x38000000, v0
                                        ; implicit-def: $vgpr28
                                        ; implicit-def: $vgpr27
.LBB0_976:                              ;   in Loop: Header=BB0_900 Depth=2
	s_andn2_saveexec_b64 s[74:75], s[74:75]
; %bb.977:                              ;   in Loop: Header=BB0_900 Depth=2
	v_cmp_gt_i16_sdwa vcc, sext(v27), v7 src0_sel:BYTE_0 src1_sel:DWORD
	v_cndmask_b32_e32 v0, v8, v54, vcc
	v_cmp_eq_u32_e32 vcc, 0, v28
	v_cndmask_b32_e32 v0, v55, v0, vcc
; %bb.978:                              ;   in Loop: Header=BB0_900 Depth=2
	s_or_b64 exec, exec, s[74:75]
.LBB0_979:                              ;   in Loop: Header=BB0_900 Depth=2
	s_or_b64 exec, exec, s[72:73]
.LBB0_980:                              ;   in Loop: Header=BB0_900 Depth=2
	s_or_b64 exec, exec, s[16:17]
	v_mul_f32_e32 v29, v62, v0
	v_and_b32_e32 v36, 0x7f800000, v29
	v_mov_b32_e32 v37, v3
	v_cmp_ne_u64_e32 vcc, s[56:57], v[36:37]
	v_and_b32_e32 v27, 0x7fffff, v29
	v_mov_b32_e32 v28, v3
                                        ; implicit-def: $vgpr31
	s_and_saveexec_b64 s[16:17], vcc
	s_xor_b64 s[72:73], exec, s[16:17]
	s_cbranch_execz .LBB0_994
; %bb.981:                              ;   in Loop: Header=BB0_900 Depth=2
	v_and_b32_e32 v36, 0x7fffffff, v29
	v_mov_b32_e32 v37, v3
	v_cmp_gt_u64_e32 vcc, s[58:59], v[36:37]
	v_and_b32_sdwa v0, v29, s48 dst_sel:DWORD dst_unused:UNUSED_PAD src0_sel:BYTE_3 src1_sel:DWORD
                                        ; implicit-def: $vgpr31
	s_and_saveexec_b64 s[16:17], vcc
	s_xor_b64 s[74:75], exec, s[16:17]
	s_cbranch_execz .LBB0_991
; %bb.982:                              ;   in Loop: Header=BB0_900 Depth=2
	v_mov_b32_e32 v31, 0
	v_cmp_ne_u32_e32 vcc, 0, v29
	s_and_saveexec_b64 s[76:77], vcc
	s_cbranch_execz .LBB0_990
; %bb.983:                              ;   in Loop: Header=BB0_900 Depth=2
	v_bfe_u32 v31, v29, 23, 8
	v_cmp_gt_u32_e64 s[16:17], s49, v31
	v_sub_u32_e32 v29, 0x71, v31
	v_cmp_eq_u32_e32 vcc, 0, v31
	v_cndmask_b32_e64 v29, 0, v29, s[16:17]
	v_cndmask_b32_e32 v33, v29, v12, vcc
	v_or_b32_e32 v36, 0x800000, v27
	v_add_u32_e32 v29, 21, v33
	v_cndmask_b32_e32 v27, v36, v27, vcc
	v_lshlrev_b64 v[36:37], v29, -1
	v_add_u32_e32 v29, 20, v33
	v_bfi_b32 v36, v36, 0, v27
	v_lshlrev_b64 v[38:39], v29, 1
	v_lshrrev_b64 v[27:28], v33, v[27:28]
	v_bfi_b32 v37, v37, 0, 0
	v_cmp_eq_u64_e64 s[16:17], v[36:37], v[38:39]
	v_mov_b32_e32 v29, v28
	v_mov_b32_e32 v28, v27
	s_and_saveexec_b64 s[78:79], s[16:17]
; %bb.984:                              ;   in Loop: Header=BB0_900 Depth=2
	v_bfe_u32 v28, v27, 21, 1
	v_add_co_u32_e64 v28, s[16:17], v27, v28
	v_add_co_u32_e64 v28, s[16:17], -1, v28
; %bb.985:                              ;   in Loop: Header=BB0_900 Depth=2
	s_or_b64 exec, exec, s[78:79]
	v_add_u32_e32 v29, 0xffffff81, v31
	v_cndmask_b32_e32 v29, v29, v48, vcc
	v_lshrrev_b32_e32 v31, 23, v27
	v_add3_u32 v33, v33, v29, v31
	v_add_u32_e32 v31, 14, v33
	v_and_b32_e32 v28, 0x1fffff, v28
	v_add_u32_e32 v27, v28, v27
	v_mov_b32_e32 v28, v3
	v_cmp_ne_u32_e32 vcc, 0, v31
                                        ; implicit-def: $vgpr29
	s_and_saveexec_b64 s[16:17], vcc
	s_xor_b64 s[16:17], exec, s[16:17]
; %bb.986:                              ;   in Loop: Header=BB0_900 Depth=2
	v_cmp_lt_u64_e32 vcc, s[60:61], v[27:28]
	v_add_u32_e32 v29, 15, v33
	v_cndmask_b32_e32 v29, v31, v29, vcc
	v_cndmask_b32_e64 v31, 0, 1, vcc
	v_lshrrev_b64 v[27:28], v31, v[27:28]
; %bb.987:                              ;   in Loop: Header=BB0_900 Depth=2
	s_andn2_saveexec_b64 s[16:17], s[16:17]
; %bb.988:                              ;   in Loop: Header=BB0_900 Depth=2
	v_bfe_u32 v29, v27, 23, 1
; %bb.989:                              ;   in Loop: Header=BB0_900 Depth=2
	s_or_b64 exec, exec, s[16:17]
	v_lshrrev_b64 v[27:28], 21, v[27:28]
	v_cmp_gt_i32_e32 vcc, 32, v29
	v_cndmask_b32_e32 v28, 0, v28, vcc
	v_cndmask_b32_e32 v27, 3, v27, vcc
	v_cmp_eq_u64_e64 s[16:17], 0, v[27:28]
	v_min_i32_e32 v28, 31, v29
	v_lshlrev_b32_e32 v28, 2, v28
	v_cmp_eq_u32_e32 vcc, 0, v29
	v_and_b32_e32 v28, 0xfc, v28
	v_and_or_b32 v27, v27, 3, v28
	s_and_b64 s[16:17], vcc, s[16:17]
	v_cndmask_b32_e64 v27, v27, 0, s[16:17]
	v_or_b32_e32 v31, v27, v0
.LBB0_990:                              ;   in Loop: Header=BB0_900 Depth=2
	s_or_b64 exec, exec, s[76:77]
                                        ; implicit-def: $vgpr0
.LBB0_991:                              ;   in Loop: Header=BB0_900 Depth=2
	s_andn2_saveexec_b64 s[16:17], s[74:75]
; %bb.992:                              ;   in Loop: Header=BB0_900 Depth=2
	v_or_b32_e32 v31, 0x7b, v0
; %bb.993:                              ;   in Loop: Header=BB0_900 Depth=2
	s_or_b64 exec, exec, s[16:17]
                                        ; implicit-def: $vgpr29
                                        ; implicit-def: $vgpr27_vgpr28
.LBB0_994:                              ;   in Loop: Header=BB0_900 Depth=2
	s_andn2_saveexec_b64 s[16:17], s[72:73]
	s_cbranch_execz .LBB0_1000
; %bb.995:                              ;   in Loop: Header=BB0_900 Depth=2
	v_cmp_ne_u64_e32 vcc, 0, v[27:28]
                                        ; implicit-def: $vgpr31
	s_and_saveexec_b64 s[72:73], vcc
	s_xor_b64 s[72:73], exec, s[72:73]
; %bb.996:                              ;   in Loop: Header=BB0_900 Depth=2
	v_or_b32_sdwa v31, v29, s50 dst_sel:DWORD dst_unused:UNUSED_PAD src0_sel:BYTE_3 src1_sel:DWORD
                                        ; implicit-def: $vgpr29
; %bb.997:                              ;   in Loop: Header=BB0_900 Depth=2
	s_andn2_saveexec_b64 s[72:73], s[72:73]
; %bb.998:                              ;   in Loop: Header=BB0_900 Depth=2
	v_cmp_lt_i32_e32 vcc, -1, v29
	v_cndmask_b32_e32 v31, v49, v11, vcc
; %bb.999:                              ;   in Loop: Header=BB0_900 Depth=2
	s_or_b64 exec, exec, s[72:73]
.LBB0_1000:                             ;   in Loop: Header=BB0_900 Depth=2
	s_or_b64 exec, exec, s[16:17]
	v_cmp_lt_u32_e32 vcc, s47, v2
	v_mov_b32_e32 v27, 0
	s_and_saveexec_b64 s[16:17], vcc
	s_cbranch_execz .LBB0_1008
; %bb.1001:                             ;   in Loop: Header=BB0_900 Depth=2
	v_lshrrev_b32_e32 v0, 24, v2
	v_cmp_ne_u32_e32 vcc, s48, v0
	v_bfrev_b32_e32 v27, 1
	s_and_saveexec_b64 s[72:73], vcc
	s_cbranch_execz .LBB0_1007
; %bb.1002:                             ;   in Loop: Header=BB0_900 Depth=2
	v_and_b32_e32 v27, 0x7c000000, v2
	v_bfe_u32 v28, v2, 24, 2
	v_cmp_ne_u32_e32 vcc, s52, v27
                                        ; implicit-def: $vgpr27
	s_and_saveexec_b64 s[74:75], vcc
	s_xor_b64 s[74:75], exec, s[74:75]
	s_cbranch_execz .LBB0_1004
; %bb.1003:                             ;   in Loop: Header=BB0_900 Depth=2
	v_ffbh_u32_e32 v29, v28
	v_min_u32_e32 v29, 32, v29
	v_subrev_u32_e32 v33, 29, v29
	v_bfe_u32 v27, v2, 26, 5
	v_lshlrev_b64 v[36:37], v33, v[0:1]
	v_sub_u32_e32 v0, 30, v29
	v_cmp_eq_u32_e32 vcc, 0, v27
	v_and_b32_e32 v29, 3, v36
	v_cndmask_b32_e32 v0, v27, v0, vcc
	v_and_b32_e32 v2, 0x80000000, v2
	v_cndmask_b32_e32 v27, v28, v29, vcc
	v_lshl_add_u32 v0, v0, 23, v2
	v_lshl_or_b32 v0, v27, 21, v0
	v_add_u32_e32 v27, 0x38000000, v0
                                        ; implicit-def: $vgpr28
.LBB0_1004:                             ;   in Loop: Header=BB0_900 Depth=2
	s_andn2_saveexec_b64 s[74:75], s[74:75]
; %bb.1005:                             ;   in Loop: Header=BB0_900 Depth=2
	v_cmp_lt_i32_e32 vcc, -1, v2
	v_cndmask_b32_e32 v0, v8, v54, vcc
	v_cmp_eq_u32_e32 vcc, 0, v28
	v_cndmask_b32_e32 v27, v55, v0, vcc
; %bb.1006:                             ;   in Loop: Header=BB0_900 Depth=2
	s_or_b64 exec, exec, s[74:75]
.LBB0_1007:                             ;   in Loop: Header=BB0_900 Depth=2
	s_or_b64 exec, exec, s[72:73]
.LBB0_1008:                             ;   in Loop: Header=BB0_900 Depth=2
	s_or_b64 exec, exec, s[16:17]
	v_mul_f32_e32 v27, v62, v27
	v_and_b32_e32 v28, 0x7f800000, v27
	v_mov_b32_e32 v29, v3
	v_cmp_ne_u64_e32 vcc, s[56:57], v[28:29]
	v_and_b32_e32 v2, 0x7fffff, v27
                                        ; implicit-def: $vgpr36
	s_and_saveexec_b64 s[16:17], vcc
	s_xor_b64 s[72:73], exec, s[16:17]
	s_cbranch_execz .LBB0_1022
; %bb.1009:                             ;   in Loop: Header=BB0_900 Depth=2
	v_and_b32_e32 v28, 0x7fffffff, v27
	v_mov_b32_e32 v29, v3
	v_cmp_gt_u64_e32 vcc, s[58:59], v[28:29]
	v_and_b32_sdwa v0, v27, s48 dst_sel:DWORD dst_unused:UNUSED_PAD src0_sel:BYTE_3 src1_sel:DWORD
                                        ; implicit-def: $vgpr36
	s_and_saveexec_b64 s[16:17], vcc
	s_xor_b64 s[74:75], exec, s[16:17]
	s_cbranch_execz .LBB0_1019
; %bb.1010:                             ;   in Loop: Header=BB0_900 Depth=2
	v_mov_b32_e32 v36, 0
	v_cmp_ne_u32_e32 vcc, 0, v27
	s_and_saveexec_b64 s[76:77], vcc
	s_cbranch_execz .LBB0_1018
; %bb.1011:                             ;   in Loop: Header=BB0_900 Depth=2
	v_bfe_u32 v33, v27, 23, 8
	v_cmp_gt_u32_e64 s[16:17], s49, v33
	v_sub_u32_e32 v27, 0x71, v33
	v_cmp_eq_u32_e32 vcc, 0, v33
	v_cndmask_b32_e64 v27, 0, v27, s[16:17]
	v_cndmask_b32_e32 v36, v27, v12, vcc
	v_or_b32_e32 v28, 0x800000, v2
	v_add_u32_e32 v27, 21, v36
	v_cndmask_b32_e32 v2, v28, v2, vcc
	v_lshlrev_b64 v[27:28], v27, -1
	v_add_u32_e32 v29, 20, v36
	v_lshlrev_b64 v[37:38], v29, 1
	v_bfi_b32 v28, v28, 0, 0
	v_bfi_b32 v27, v27, 0, v2
	v_cmp_eq_u64_e64 s[16:17], v[27:28], v[37:38]
	v_lshrrev_b64 v[27:28], v36, v[2:3]
	v_mov_b32_e32 v29, v28
	v_mov_b32_e32 v28, v27
	s_and_saveexec_b64 s[78:79], s[16:17]
; %bb.1012:                             ;   in Loop: Header=BB0_900 Depth=2
	v_bfe_u32 v2, v27, 21, 1
	v_add_co_u32_e64 v2, s[16:17], v27, v2
	v_add_co_u32_e64 v28, s[16:17], -1, v2
; %bb.1013:                             ;   in Loop: Header=BB0_900 Depth=2
	s_or_b64 exec, exec, s[78:79]
	v_add_u32_e32 v2, 0xffffff81, v33
	v_cndmask_b32_e32 v2, v2, v48, vcc
	v_lshrrev_b32_e32 v29, 23, v27
	v_add3_u32 v36, v36, v2, v29
	v_add_u32_e32 v33, 14, v36
	v_and_b32_e32 v2, 0x1fffff, v28
	v_add_u32_e32 v2, v2, v27
	v_cmp_ne_u32_e32 vcc, 0, v33
                                        ; implicit-def: $vgpr27_vgpr28
                                        ; implicit-def: $vgpr29
	s_and_saveexec_b64 s[16:17], vcc
	s_xor_b64 s[16:17], exec, s[16:17]
; %bb.1014:                             ;   in Loop: Header=BB0_900 Depth=2
	v_cmp_lt_u64_e32 vcc, s[60:61], v[2:3]
	v_add_u32_e32 v27, 15, v36
	v_cndmask_b32_e32 v29, v33, v27, vcc
	v_cndmask_b32_e64 v27, 0, 1, vcc
	v_lshrrev_b64 v[27:28], v27, v[2:3]
; %bb.1015:                             ;   in Loop: Header=BB0_900 Depth=2
	s_andn2_saveexec_b64 s[16:17], s[16:17]
; %bb.1016:                             ;   in Loop: Header=BB0_900 Depth=2
	v_mov_b32_e32 v28, v3
	v_bfe_u32 v29, v2, 23, 1
	v_mov_b32_e32 v27, v2
; %bb.1017:                             ;   in Loop: Header=BB0_900 Depth=2
	s_or_b64 exec, exec, s[16:17]
	v_lshrrev_b64 v[27:28], 21, v[27:28]
	v_cmp_gt_i32_e32 vcc, 32, v29
	v_cndmask_b32_e32 v28, 0, v28, vcc
	v_cndmask_b32_e32 v27, 3, v27, vcc
	v_min_i32_e32 v2, 31, v29
	v_cmp_eq_u64_e64 s[16:17], 0, v[27:28]
	v_lshlrev_b32_e32 v2, 2, v2
	v_cmp_eq_u32_e32 vcc, 0, v29
	v_and_b32_e32 v2, 0xfc, v2
	v_and_or_b32 v2, v27, 3, v2
	s_and_b64 s[16:17], vcc, s[16:17]
	v_cndmask_b32_e64 v2, v2, 0, s[16:17]
	v_or_b32_e32 v36, v2, v0
.LBB0_1018:                             ;   in Loop: Header=BB0_900 Depth=2
	s_or_b64 exec, exec, s[76:77]
                                        ; implicit-def: $vgpr0
.LBB0_1019:                             ;   in Loop: Header=BB0_900 Depth=2
	s_andn2_saveexec_b64 s[16:17], s[74:75]
; %bb.1020:                             ;   in Loop: Header=BB0_900 Depth=2
	v_or_b32_e32 v36, 0x7b, v0
; %bb.1021:                             ;   in Loop: Header=BB0_900 Depth=2
	s_or_b64 exec, exec, s[16:17]
                                        ; implicit-def: $vgpr27
.LBB0_1022:                             ;   in Loop: Header=BB0_900 Depth=2
	s_andn2_saveexec_b64 s[16:17], s[72:73]
	s_cbranch_execz .LBB0_1028
; %bb.1023:                             ;   in Loop: Header=BB0_900 Depth=2
	v_cmp_ne_u64_e32 vcc, 0, v[2:3]
                                        ; implicit-def: $vgpr36
	s_and_saveexec_b64 s[72:73], vcc
	s_xor_b64 s[72:73], exec, s[72:73]
; %bb.1024:                             ;   in Loop: Header=BB0_900 Depth=2
	v_or_b32_sdwa v36, v27, s50 dst_sel:DWORD dst_unused:UNUSED_PAD src0_sel:BYTE_3 src1_sel:DWORD
                                        ; implicit-def: $vgpr27
; %bb.1025:                             ;   in Loop: Header=BB0_900 Depth=2
	s_andn2_saveexec_b64 s[72:73], s[72:73]
; %bb.1026:                             ;   in Loop: Header=BB0_900 Depth=2
	v_cmp_lt_i32_e32 vcc, -1, v27
	v_cndmask_b32_e32 v36, v49, v11, vcc
; %bb.1027:                             ;   in Loop: Header=BB0_900 Depth=2
	s_or_b64 exec, exec, s[72:73]
.LBB0_1028:                             ;   in Loop: Header=BB0_900 Depth=2
	s_or_b64 exec, exec, s[16:17]
	v_alignbit_b32 v2, v24, v32, v30
	v_cmp_ne_u16_sdwa s[72:73], v2, v3 src0_sel:BYTE_0 src1_sel:DWORD
	v_mov_b32_e32 v0, 0
	s_and_saveexec_b64 s[16:17], s[72:73]
	s_cbranch_execz .LBB0_1036
; %bb.1029:                             ;   in Loop: Header=BB0_900 Depth=2
	v_cmp_ne_u16_sdwa s[74:75], sext(v2), s38 src0_sel:BYTE_0 src1_sel:DWORD
	v_bfrev_b32_e32 v0, 1
	s_and_saveexec_b64 s[72:73], s[74:75]
	s_cbranch_execz .LBB0_1035
; %bb.1030:                             ;   in Loop: Header=BB0_900 Depth=2
	v_and_b32_e32 v0, 0x7c, v2
	v_and_b32_e32 v24, 3, v2
	v_cmp_ne_u32_e32 vcc, s39, v0
                                        ; implicit-def: $vgpr0
	s_and_saveexec_b64 s[74:75], vcc
	s_xor_b64 s[74:75], exec, s[74:75]
	s_cbranch_execz .LBB0_1032
; %bb.1031:                             ;   in Loop: Header=BB0_900 Depth=2
	v_ffbh_u32_e32 v27, v24
	v_min_u32_e32 v29, 32, v27
	v_subrev_u32_e32 v27, 29, v29
	v_lshlrev_b64 v[27:28], v27, v[2:3]
	v_bfe_u32 v0, v2, 2, 5
	v_and_b32_e32 v27, 3, v27
	v_cmp_eq_u32_e32 vcc, 0, v0
	v_sub_u32_e32 v28, 30, v29
	v_cndmask_b32_e32 v24, v24, v27, vcc
	v_lshlrev_b32_e32 v27, 24, v2
	v_cndmask_b32_e32 v0, v0, v28, vcc
	v_and_b32_e32 v27, 0x80000000, v27
	v_lshl_add_u32 v0, v0, 23, v27
	v_lshl_or_b32 v0, v24, 21, v0
	v_add_u32_e32 v0, 0x38000000, v0
                                        ; implicit-def: $vgpr24
.LBB0_1032:                             ;   in Loop: Header=BB0_900 Depth=2
	s_andn2_saveexec_b64 s[74:75], s[74:75]
; %bb.1033:                             ;   in Loop: Header=BB0_900 Depth=2
	v_cmp_gt_i16_sdwa vcc, sext(v2), v7 src0_sel:BYTE_0 src1_sel:DWORD
	v_cndmask_b32_e32 v0, v8, v54, vcc
	v_cmp_eq_u32_e32 vcc, 0, v24
	v_cndmask_b32_e32 v0, v55, v0, vcc
; %bb.1034:                             ;   in Loop: Header=BB0_900 Depth=2
	s_or_b64 exec, exec, s[74:75]
.LBB0_1035:                             ;   in Loop: Header=BB0_900 Depth=2
	s_or_b64 exec, exec, s[72:73]
.LBB0_1036:                             ;   in Loop: Header=BB0_900 Depth=2
	s_or_b64 exec, exec, s[16:17]
	v_mul_f32_e32 v24, v62, v0
	v_and_b32_e32 v28, 0x7f800000, v24
	v_mov_b32_e32 v29, v3
	v_cmp_ne_u64_e32 vcc, s[56:57], v[28:29]
	v_and_b32_e32 v27, 0x7fffff, v24
	v_mov_b32_e32 v28, v3
                                        ; implicit-def: $vgpr30
	s_and_saveexec_b64 s[16:17], vcc
	s_xor_b64 s[72:73], exec, s[16:17]
	s_cbranch_execz .LBB0_1050
; %bb.1037:                             ;   in Loop: Header=BB0_900 Depth=2
	v_and_b32_e32 v29, 0x7fffffff, v24
	v_mov_b32_e32 v30, v3
	v_cmp_gt_u64_e32 vcc, s[58:59], v[29:30]
	v_and_b32_sdwa v0, v24, s48 dst_sel:DWORD dst_unused:UNUSED_PAD src0_sel:BYTE_3 src1_sel:DWORD
                                        ; implicit-def: $vgpr30
	s_and_saveexec_b64 s[16:17], vcc
	s_xor_b64 s[74:75], exec, s[16:17]
	s_cbranch_execz .LBB0_1047
; %bb.1038:                             ;   in Loop: Header=BB0_900 Depth=2
	v_mov_b32_e32 v30, 0
	v_cmp_ne_u32_e32 vcc, 0, v24
	s_and_saveexec_b64 s[76:77], vcc
	s_cbranch_execz .LBB0_1046
; %bb.1039:                             ;   in Loop: Header=BB0_900 Depth=2
	v_bfe_u32 v24, v24, 23, 8
	v_cmp_gt_u32_e64 s[16:17], s49, v24
	v_sub_u32_e32 v29, 0x71, v24
	v_cmp_eq_u32_e32 vcc, 0, v24
	v_cndmask_b32_e64 v29, 0, v29, s[16:17]
	v_cndmask_b32_e32 v30, v29, v12, vcc
	v_or_b32_e32 v32, 0x800000, v27
	v_add_u32_e32 v29, 21, v30
	v_cndmask_b32_e32 v27, v32, v27, vcc
	v_lshlrev_b64 v[32:33], v29, -1
	v_add_u32_e32 v29, 20, v30
	v_bfi_b32 v32, v32, 0, v27
	v_lshlrev_b64 v[37:38], v29, 1
	v_lshrrev_b64 v[27:28], v30, v[27:28]
	v_bfi_b32 v33, v33, 0, 0
	v_cmp_eq_u64_e64 s[16:17], v[32:33], v[37:38]
	v_mov_b32_e32 v29, v28
	v_mov_b32_e32 v28, v27
	s_and_saveexec_b64 s[78:79], s[16:17]
; %bb.1040:                             ;   in Loop: Header=BB0_900 Depth=2
	v_bfe_u32 v28, v27, 21, 1
	v_add_co_u32_e64 v28, s[16:17], v27, v28
	v_add_co_u32_e64 v28, s[16:17], -1, v28
; %bb.1041:                             ;   in Loop: Header=BB0_900 Depth=2
	s_or_b64 exec, exec, s[78:79]
	v_add_u32_e32 v24, 0xffffff81, v24
	v_cndmask_b32_e32 v24, v24, v48, vcc
	v_lshrrev_b32_e32 v29, 23, v27
	v_add3_u32 v30, v30, v24, v29
	v_add_u32_e32 v29, 14, v30
	v_and_b32_e32 v24, 0x1fffff, v28
	v_add_u32_e32 v27, v24, v27
	v_mov_b32_e32 v28, v3
	v_cmp_ne_u32_e32 vcc, 0, v29
                                        ; implicit-def: $vgpr24
	s_and_saveexec_b64 s[16:17], vcc
	s_xor_b64 s[16:17], exec, s[16:17]
; %bb.1042:                             ;   in Loop: Header=BB0_900 Depth=2
	v_cmp_lt_u64_e32 vcc, s[60:61], v[27:28]
	v_add_u32_e32 v24, 15, v30
	v_cndmask_b32_e32 v24, v29, v24, vcc
	v_cndmask_b32_e64 v29, 0, 1, vcc
	v_lshrrev_b64 v[27:28], v29, v[27:28]
; %bb.1043:                             ;   in Loop: Header=BB0_900 Depth=2
	s_andn2_saveexec_b64 s[16:17], s[16:17]
; %bb.1044:                             ;   in Loop: Header=BB0_900 Depth=2
	v_bfe_u32 v24, v27, 23, 1
; %bb.1045:                             ;   in Loop: Header=BB0_900 Depth=2
	s_or_b64 exec, exec, s[16:17]
	v_lshrrev_b64 v[27:28], 21, v[27:28]
	v_cmp_gt_i32_e32 vcc, 32, v24
	v_cndmask_b32_e32 v28, 0, v28, vcc
	v_cndmask_b32_e32 v27, 3, v27, vcc
	v_cmp_eq_u32_e32 vcc, 0, v24
	v_min_i32_e32 v24, 31, v24
	v_cmp_eq_u64_e64 s[16:17], 0, v[27:28]
	v_lshlrev_b32_e32 v24, 2, v24
	v_and_b32_e32 v24, 0xfc, v24
	v_and_or_b32 v24, v27, 3, v24
	s_and_b64 s[16:17], vcc, s[16:17]
	v_cndmask_b32_e64 v24, v24, 0, s[16:17]
	v_or_b32_e32 v30, v24, v0
.LBB0_1046:                             ;   in Loop: Header=BB0_900 Depth=2
	s_or_b64 exec, exec, s[76:77]
                                        ; implicit-def: $vgpr0
.LBB0_1047:                             ;   in Loop: Header=BB0_900 Depth=2
	s_andn2_saveexec_b64 s[16:17], s[74:75]
; %bb.1048:                             ;   in Loop: Header=BB0_900 Depth=2
	v_or_b32_e32 v30, 0x7b, v0
; %bb.1049:                             ;   in Loop: Header=BB0_900 Depth=2
	s_or_b64 exec, exec, s[16:17]
                                        ; implicit-def: $vgpr24
                                        ; implicit-def: $vgpr27_vgpr28
.LBB0_1050:                             ;   in Loop: Header=BB0_900 Depth=2
	s_andn2_saveexec_b64 s[16:17], s[72:73]
	s_cbranch_execz .LBB0_1056
; %bb.1051:                             ;   in Loop: Header=BB0_900 Depth=2
	v_cmp_ne_u64_e32 vcc, 0, v[27:28]
                                        ; implicit-def: $vgpr30
	s_and_saveexec_b64 s[72:73], vcc
	s_xor_b64 s[72:73], exec, s[72:73]
; %bb.1052:                             ;   in Loop: Header=BB0_900 Depth=2
	v_or_b32_sdwa v30, v24, s50 dst_sel:DWORD dst_unused:UNUSED_PAD src0_sel:BYTE_3 src1_sel:DWORD
                                        ; implicit-def: $vgpr24
; %bb.1053:                             ;   in Loop: Header=BB0_900 Depth=2
	s_andn2_saveexec_b64 s[72:73], s[72:73]
; %bb.1054:                             ;   in Loop: Header=BB0_900 Depth=2
	v_cmp_lt_i32_e32 vcc, -1, v24
	v_cndmask_b32_e32 v30, v49, v11, vcc
; %bb.1055:                             ;   in Loop: Header=BB0_900 Depth=2
	s_or_b64 exec, exec, s[72:73]
.LBB0_1056:                             ;   in Loop: Header=BB0_900 Depth=2
	s_or_b64 exec, exec, s[16:17]
	v_lshrrev_b16_e32 v27, 8, v2
	v_cmp_ne_u16_e32 vcc, 0, v27
	v_mov_b32_e32 v0, 0
	s_and_saveexec_b64 s[16:17], vcc
	s_cbranch_execz .LBB0_1064
; %bb.1057:                             ;   in Loop: Header=BB0_900 Depth=2
	v_cmp_ne_u16_e32 vcc, s48, v27
	v_bfrev_b32_e32 v0, 1
	s_and_saveexec_b64 s[72:73], vcc
	s_cbranch_execz .LBB0_1063
; %bb.1058:                             ;   in Loop: Header=BB0_900 Depth=2
	v_and_b32_e32 v0, 0x7c, v27
	v_and_b32_e32 v24, 3, v27
	v_cmp_ne_u32_e32 vcc, s39, v0
                                        ; implicit-def: $vgpr0
	s_and_saveexec_b64 s[74:75], vcc
	s_xor_b64 s[74:75], exec, s[74:75]
	s_cbranch_execz .LBB0_1060
; %bb.1059:                             ;   in Loop: Header=BB0_900 Depth=2
	v_ffbh_u32_e32 v29, v24
	v_min_u32_e32 v29, 32, v29
	v_mov_b32_e32 v28, v3
	v_subrev_u32_e32 v32, 29, v29
	v_bfe_u32 v0, v27, 2, 5
	v_lshlrev_b64 v[27:28], v32, v[27:28]
	v_cmp_eq_u32_e32 vcc, 0, v0
	v_and_b32_e32 v27, 3, v27
	v_sub_u32_e32 v28, 30, v29
	v_cndmask_b32_e32 v24, v24, v27, vcc
	v_lshlrev_b32_e32 v27, 16, v2
	v_cndmask_b32_e32 v0, v0, v28, vcc
	v_and_b32_e32 v27, 0x80000000, v27
	v_lshl_add_u32 v0, v0, 23, v27
	v_lshl_or_b32 v0, v24, 21, v0
	v_add_u32_e32 v0, 0x38000000, v0
                                        ; implicit-def: $vgpr24
.LBB0_1060:                             ;   in Loop: Header=BB0_900 Depth=2
	s_andn2_saveexec_b64 s[74:75], s[74:75]
; %bb.1061:                             ;   in Loop: Header=BB0_900 Depth=2
	v_cmp_lt_i16_e32 vcc, -1, v2
	v_cndmask_b32_e32 v0, v8, v54, vcc
	v_cmp_eq_u32_e32 vcc, 0, v24
	v_cndmask_b32_e32 v0, v55, v0, vcc
; %bb.1062:                             ;   in Loop: Header=BB0_900 Depth=2
	s_or_b64 exec, exec, s[74:75]
.LBB0_1063:                             ;   in Loop: Header=BB0_900 Depth=2
	s_or_b64 exec, exec, s[72:73]
.LBB0_1064:                             ;   in Loop: Header=BB0_900 Depth=2
	s_or_b64 exec, exec, s[16:17]
	v_mul_f32_e32 v24, v62, v0
	v_and_b32_e32 v28, 0x7f800000, v24
	v_mov_b32_e32 v29, v3
	v_cmp_ne_u64_e32 vcc, s[56:57], v[28:29]
	v_and_b32_e32 v27, 0x7fffff, v24
	v_mov_b32_e32 v28, v3
                                        ; implicit-def: $vgpr32
	s_and_saveexec_b64 s[16:17], vcc
	s_xor_b64 s[72:73], exec, s[16:17]
	s_cbranch_execz .LBB0_1078
; %bb.1065:                             ;   in Loop: Header=BB0_900 Depth=2
	v_and_b32_e32 v32, 0x7fffffff, v24
	v_mov_b32_e32 v33, v3
	v_cmp_gt_u64_e32 vcc, s[58:59], v[32:33]
	v_and_b32_sdwa v0, v24, s48 dst_sel:DWORD dst_unused:UNUSED_PAD src0_sel:BYTE_3 src1_sel:DWORD
                                        ; implicit-def: $vgpr32
	s_and_saveexec_b64 s[16:17], vcc
	s_xor_b64 s[74:75], exec, s[16:17]
	s_cbranch_execz .LBB0_1075
; %bb.1066:                             ;   in Loop: Header=BB0_900 Depth=2
	v_mov_b32_e32 v32, 0
	v_cmp_ne_u32_e32 vcc, 0, v24
	s_and_saveexec_b64 s[76:77], vcc
	s_cbranch_execz .LBB0_1074
; %bb.1067:                             ;   in Loop: Header=BB0_900 Depth=2
	v_bfe_u32 v24, v24, 23, 8
	v_cmp_gt_u32_e64 s[16:17], s49, v24
	v_sub_u32_e32 v29, 0x71, v24
	v_cmp_eq_u32_e32 vcc, 0, v24
	v_cndmask_b32_e64 v29, 0, v29, s[16:17]
	v_cndmask_b32_e32 v32, v29, v12, vcc
	v_add_u32_e32 v29, 21, v32
	v_or_b32_e32 v33, 0x800000, v27
	v_lshlrev_b64 v[37:38], v29, -1
	v_cndmask_b32_e32 v27, v33, v27, vcc
	v_add_u32_e32 v29, 20, v32
	v_bfi_b32 v37, v37, 0, v27
	v_lshlrev_b64 v[44:45], v29, 1
	v_lshrrev_b64 v[27:28], v32, v[27:28]
	v_bfi_b32 v38, v38, 0, 0
	v_cmp_eq_u64_e64 s[16:17], v[37:38], v[44:45]
	v_mov_b32_e32 v29, v28
	v_mov_b32_e32 v28, v27
	s_and_saveexec_b64 s[78:79], s[16:17]
; %bb.1068:                             ;   in Loop: Header=BB0_900 Depth=2
	v_bfe_u32 v28, v27, 21, 1
	v_add_co_u32_e64 v28, s[16:17], v27, v28
	v_add_co_u32_e64 v28, s[16:17], -1, v28
; %bb.1069:                             ;   in Loop: Header=BB0_900 Depth=2
	s_or_b64 exec, exec, s[78:79]
	v_add_u32_e32 v24, 0xffffff81, v24
	v_cndmask_b32_e32 v24, v24, v48, vcc
	v_lshrrev_b32_e32 v29, 23, v27
	v_add3_u32 v32, v32, v24, v29
	v_add_u32_e32 v29, 14, v32
	v_and_b32_e32 v24, 0x1fffff, v28
	v_add_u32_e32 v27, v24, v27
	v_mov_b32_e32 v28, v3
	v_cmp_ne_u32_e32 vcc, 0, v29
                                        ; implicit-def: $vgpr24
	s_and_saveexec_b64 s[16:17], vcc
	s_xor_b64 s[16:17], exec, s[16:17]
; %bb.1070:                             ;   in Loop: Header=BB0_900 Depth=2
	v_cmp_lt_u64_e32 vcc, s[60:61], v[27:28]
	v_add_u32_e32 v24, 15, v32
	v_cndmask_b32_e32 v24, v29, v24, vcc
	v_cndmask_b32_e64 v29, 0, 1, vcc
	v_lshrrev_b64 v[27:28], v29, v[27:28]
; %bb.1071:                             ;   in Loop: Header=BB0_900 Depth=2
	s_andn2_saveexec_b64 s[16:17], s[16:17]
; %bb.1072:                             ;   in Loop: Header=BB0_900 Depth=2
	v_bfe_u32 v24, v27, 23, 1
; %bb.1073:                             ;   in Loop: Header=BB0_900 Depth=2
	s_or_b64 exec, exec, s[16:17]
	v_lshrrev_b64 v[27:28], 21, v[27:28]
	v_cmp_gt_i32_e32 vcc, 32, v24
	v_cndmask_b32_e32 v28, 0, v28, vcc
	v_cndmask_b32_e32 v27, 3, v27, vcc
	v_cmp_eq_u32_e32 vcc, 0, v24
	v_min_i32_e32 v24, 31, v24
	v_cmp_eq_u64_e64 s[16:17], 0, v[27:28]
	v_lshlrev_b32_e32 v24, 2, v24
	v_and_b32_e32 v24, 0xfc, v24
	v_and_or_b32 v24, v27, 3, v24
	s_and_b64 s[16:17], vcc, s[16:17]
	v_cndmask_b32_e64 v24, v24, 0, s[16:17]
	v_or_b32_e32 v32, v24, v0
.LBB0_1074:                             ;   in Loop: Header=BB0_900 Depth=2
	s_or_b64 exec, exec, s[76:77]
                                        ; implicit-def: $vgpr0
.LBB0_1075:                             ;   in Loop: Header=BB0_900 Depth=2
	s_andn2_saveexec_b64 s[16:17], s[74:75]
; %bb.1076:                             ;   in Loop: Header=BB0_900 Depth=2
	v_or_b32_e32 v32, 0x7b, v0
; %bb.1077:                             ;   in Loop: Header=BB0_900 Depth=2
	s_or_b64 exec, exec, s[16:17]
                                        ; implicit-def: $vgpr24
                                        ; implicit-def: $vgpr27_vgpr28
.LBB0_1078:                             ;   in Loop: Header=BB0_900 Depth=2
	s_andn2_saveexec_b64 s[16:17], s[72:73]
	s_cbranch_execz .LBB0_1084
; %bb.1079:                             ;   in Loop: Header=BB0_900 Depth=2
	v_cmp_ne_u64_e32 vcc, 0, v[27:28]
                                        ; implicit-def: $vgpr32
	s_and_saveexec_b64 s[72:73], vcc
	s_xor_b64 s[72:73], exec, s[72:73]
; %bb.1080:                             ;   in Loop: Header=BB0_900 Depth=2
	v_or_b32_sdwa v32, v24, s50 dst_sel:DWORD dst_unused:UNUSED_PAD src0_sel:BYTE_3 src1_sel:DWORD
                                        ; implicit-def: $vgpr24
; %bb.1081:                             ;   in Loop: Header=BB0_900 Depth=2
	s_andn2_saveexec_b64 s[72:73], s[72:73]
; %bb.1082:                             ;   in Loop: Header=BB0_900 Depth=2
	v_cmp_lt_i32_e32 vcc, -1, v24
	v_cndmask_b32_e32 v32, v49, v11, vcc
; %bb.1083:                             ;   in Loop: Header=BB0_900 Depth=2
	s_or_b64 exec, exec, s[72:73]
.LBB0_1084:                             ;   in Loop: Header=BB0_900 Depth=2
	s_or_b64 exec, exec, s[16:17]
	v_and_b32_sdwa v27, v2, s37 dst_sel:DWORD dst_unused:UNUSED_PAD src0_sel:WORD_1 src1_sel:DWORD
	v_lshrrev_b32_e32 v0, 16, v2
	v_cmp_ne_u16_e32 vcc, 0, v27
	v_mov_b32_e32 v24, 0
	s_and_saveexec_b64 s[16:17], vcc
	s_cbranch_execz .LBB0_1092
; %bb.1085:                             ;   in Loop: Header=BB0_900 Depth=2
	v_cmp_ne_u16_e32 vcc, s48, v27
	v_bfrev_b32_e32 v24, 1
	s_and_saveexec_b64 s[72:73], vcc
	s_cbranch_execz .LBB0_1091
; %bb.1086:                             ;   in Loop: Header=BB0_900 Depth=2
	v_and_b32_e32 v24, 0x7c0000, v2
	v_bfe_u32 v27, v2, 16, 2
	v_cmp_ne_u32_e32 vcc, s51, v24
                                        ; implicit-def: $vgpr24
	s_and_saveexec_b64 s[74:75], vcc
	s_xor_b64 s[74:75], exec, s[74:75]
	s_cbranch_execz .LBB0_1088
; %bb.1087:                             ;   in Loop: Header=BB0_900 Depth=2
	v_ffbh_u32_e32 v28, v27
	v_min_u32_e32 v33, 32, v28
	v_subrev_u32_e32 v28, 29, v33
	v_lshlrev_b64 v[28:29], v28, v[0:1]
	v_bfe_u32 v24, v2, 18, 5
	v_sub_u32_e32 v0, 30, v33
	v_and_b32_e32 v28, 3, v28
	v_cmp_eq_u32_e32 vcc, 0, v24
	v_cndmask_b32_e32 v0, v24, v0, vcc
	v_cndmask_b32_e32 v24, v27, v28, vcc
	v_lshlrev_b32_e32 v27, 8, v2
	v_and_b32_e32 v27, 0x80000000, v27
	v_lshl_add_u32 v0, v0, 23, v27
	v_lshl_or_b32 v0, v24, 21, v0
	v_add_u32_e32 v24, 0x38000000, v0
                                        ; implicit-def: $vgpr27
                                        ; implicit-def: $vgpr0
.LBB0_1088:                             ;   in Loop: Header=BB0_900 Depth=2
	s_andn2_saveexec_b64 s[74:75], s[74:75]
; %bb.1089:                             ;   in Loop: Header=BB0_900 Depth=2
	v_cmp_gt_i16_sdwa vcc, sext(v0), v7 src0_sel:BYTE_0 src1_sel:DWORD
	v_cndmask_b32_e32 v0, v8, v54, vcc
	v_cmp_eq_u32_e32 vcc, 0, v27
	v_cndmask_b32_e32 v24, v55, v0, vcc
; %bb.1090:                             ;   in Loop: Header=BB0_900 Depth=2
	s_or_b64 exec, exec, s[74:75]
.LBB0_1091:                             ;   in Loop: Header=BB0_900 Depth=2
	s_or_b64 exec, exec, s[72:73]
.LBB0_1092:                             ;   in Loop: Header=BB0_900 Depth=2
	s_or_b64 exec, exec, s[16:17]
	v_mul_f32_e32 v24, v62, v24
	v_and_b32_e32 v28, 0x7f800000, v24
	v_mov_b32_e32 v29, v3
	v_cmp_ne_u64_e32 vcc, s[56:57], v[28:29]
	v_and_b32_e32 v27, 0x7fffff, v24
	v_mov_b32_e32 v28, v3
                                        ; implicit-def: $vgpr33
	s_and_saveexec_b64 s[16:17], vcc
	s_xor_b64 s[72:73], exec, s[16:17]
	s_cbranch_execz .LBB0_1106
; %bb.1093:                             ;   in Loop: Header=BB0_900 Depth=2
	v_and_b32_e32 v37, 0x7fffffff, v24
	v_mov_b32_e32 v38, v3
	v_cmp_gt_u64_e32 vcc, s[58:59], v[37:38]
	v_and_b32_sdwa v0, v24, s48 dst_sel:DWORD dst_unused:UNUSED_PAD src0_sel:BYTE_3 src1_sel:DWORD
                                        ; implicit-def: $vgpr33
	s_and_saveexec_b64 s[16:17], vcc
	s_xor_b64 s[74:75], exec, s[16:17]
	s_cbranch_execz .LBB0_1103
; %bb.1094:                             ;   in Loop: Header=BB0_900 Depth=2
	v_mov_b32_e32 v33, 0
	v_cmp_ne_u32_e32 vcc, 0, v24
	s_and_saveexec_b64 s[76:77], vcc
	s_cbranch_execz .LBB0_1102
; %bb.1095:                             ;   in Loop: Header=BB0_900 Depth=2
	v_bfe_u32 v24, v24, 23, 8
	v_cmp_gt_u32_e64 s[16:17], s49, v24
	v_sub_u32_e32 v29, 0x71, v24
	v_cmp_eq_u32_e32 vcc, 0, v24
	v_cndmask_b32_e64 v29, 0, v29, s[16:17]
	v_cndmask_b32_e32 v33, v29, v12, vcc
	v_or_b32_e32 v37, 0x800000, v27
	v_add_u32_e32 v29, 21, v33
	v_cndmask_b32_e32 v27, v37, v27, vcc
	v_lshlrev_b64 v[37:38], v29, -1
	v_add_u32_e32 v29, 20, v33
	v_bfi_b32 v37, v37, 0, v27
	v_lshlrev_b64 v[44:45], v29, 1
	v_lshrrev_b64 v[27:28], v33, v[27:28]
	v_bfi_b32 v38, v38, 0, 0
	v_cmp_eq_u64_e64 s[16:17], v[37:38], v[44:45]
	v_mov_b32_e32 v29, v28
	v_mov_b32_e32 v28, v27
	s_and_saveexec_b64 s[78:79], s[16:17]
; %bb.1096:                             ;   in Loop: Header=BB0_900 Depth=2
	v_bfe_u32 v28, v27, 21, 1
	v_add_co_u32_e64 v28, s[16:17], v27, v28
	v_add_co_u32_e64 v28, s[16:17], -1, v28
; %bb.1097:                             ;   in Loop: Header=BB0_900 Depth=2
	s_or_b64 exec, exec, s[78:79]
	v_add_u32_e32 v24, 0xffffff81, v24
	v_cndmask_b32_e32 v24, v24, v48, vcc
	v_lshrrev_b32_e32 v29, 23, v27
	v_add3_u32 v33, v33, v24, v29
	v_add_u32_e32 v29, 14, v33
	v_and_b32_e32 v24, 0x1fffff, v28
	v_add_u32_e32 v27, v24, v27
	v_mov_b32_e32 v28, v3
	v_cmp_ne_u32_e32 vcc, 0, v29
                                        ; implicit-def: $vgpr24
	s_and_saveexec_b64 s[16:17], vcc
	s_xor_b64 s[16:17], exec, s[16:17]
; %bb.1098:                             ;   in Loop: Header=BB0_900 Depth=2
	v_cmp_lt_u64_e32 vcc, s[60:61], v[27:28]
	v_add_u32_e32 v24, 15, v33
	v_cndmask_b32_e32 v24, v29, v24, vcc
	v_cndmask_b32_e64 v29, 0, 1, vcc
	v_lshrrev_b64 v[27:28], v29, v[27:28]
; %bb.1099:                             ;   in Loop: Header=BB0_900 Depth=2
	s_andn2_saveexec_b64 s[16:17], s[16:17]
; %bb.1100:                             ;   in Loop: Header=BB0_900 Depth=2
	v_bfe_u32 v24, v27, 23, 1
; %bb.1101:                             ;   in Loop: Header=BB0_900 Depth=2
	s_or_b64 exec, exec, s[16:17]
	v_lshrrev_b64 v[27:28], 21, v[27:28]
	v_cmp_gt_i32_e32 vcc, 32, v24
	v_cndmask_b32_e32 v28, 0, v28, vcc
	v_cndmask_b32_e32 v27, 3, v27, vcc
	v_cmp_eq_u32_e32 vcc, 0, v24
	v_min_i32_e32 v24, 31, v24
	v_cmp_eq_u64_e64 s[16:17], 0, v[27:28]
	v_lshlrev_b32_e32 v24, 2, v24
	v_and_b32_e32 v24, 0xfc, v24
	v_and_or_b32 v24, v27, 3, v24
	s_and_b64 s[16:17], vcc, s[16:17]
	v_cndmask_b32_e64 v24, v24, 0, s[16:17]
	v_or_b32_e32 v33, v24, v0
.LBB0_1102:                             ;   in Loop: Header=BB0_900 Depth=2
	s_or_b64 exec, exec, s[76:77]
                                        ; implicit-def: $vgpr0
.LBB0_1103:                             ;   in Loop: Header=BB0_900 Depth=2
	s_andn2_saveexec_b64 s[16:17], s[74:75]
; %bb.1104:                             ;   in Loop: Header=BB0_900 Depth=2
	v_or_b32_e32 v33, 0x7b, v0
; %bb.1105:                             ;   in Loop: Header=BB0_900 Depth=2
	s_or_b64 exec, exec, s[16:17]
                                        ; implicit-def: $vgpr24
                                        ; implicit-def: $vgpr27_vgpr28
.LBB0_1106:                             ;   in Loop: Header=BB0_900 Depth=2
	s_andn2_saveexec_b64 s[16:17], s[72:73]
	s_cbranch_execz .LBB0_1112
; %bb.1107:                             ;   in Loop: Header=BB0_900 Depth=2
	v_cmp_ne_u64_e32 vcc, 0, v[27:28]
                                        ; implicit-def: $vgpr33
	s_and_saveexec_b64 s[72:73], vcc
	s_xor_b64 s[72:73], exec, s[72:73]
; %bb.1108:                             ;   in Loop: Header=BB0_900 Depth=2
	v_or_b32_sdwa v33, v24, s50 dst_sel:DWORD dst_unused:UNUSED_PAD src0_sel:BYTE_3 src1_sel:DWORD
                                        ; implicit-def: $vgpr24
; %bb.1109:                             ;   in Loop: Header=BB0_900 Depth=2
	s_andn2_saveexec_b64 s[72:73], s[72:73]
; %bb.1110:                             ;   in Loop: Header=BB0_900 Depth=2
	v_cmp_lt_i32_e32 vcc, -1, v24
	v_cndmask_b32_e32 v33, v49, v11, vcc
; %bb.1111:                             ;   in Loop: Header=BB0_900 Depth=2
	s_or_b64 exec, exec, s[72:73]
.LBB0_1112:                             ;   in Loop: Header=BB0_900 Depth=2
	s_or_b64 exec, exec, s[16:17]
	v_cmp_lt_u32_e32 vcc, s47, v2
	v_mov_b32_e32 v24, 0
	s_and_saveexec_b64 s[16:17], vcc
	s_cbranch_execz .LBB0_1120
; %bb.1113:                             ;   in Loop: Header=BB0_900 Depth=2
	v_lshrrev_b32_e32 v0, 24, v2
	v_cmp_ne_u32_e32 vcc, s48, v0
	v_bfrev_b32_e32 v24, 1
	s_and_saveexec_b64 s[72:73], vcc
	s_cbranch_execz .LBB0_1119
; %bb.1114:                             ;   in Loop: Header=BB0_900 Depth=2
	v_and_b32_e32 v24, 0x7c000000, v2
	v_bfe_u32 v27, v2, 24, 2
	v_cmp_ne_u32_e32 vcc, s52, v24
                                        ; implicit-def: $vgpr24
	s_and_saveexec_b64 s[74:75], vcc
	s_xor_b64 s[74:75], exec, s[74:75]
	s_cbranch_execz .LBB0_1116
; %bb.1115:                             ;   in Loop: Header=BB0_900 Depth=2
	v_ffbh_u32_e32 v28, v27
	v_min_u32_e32 v37, 32, v28
	v_subrev_u32_e32 v28, 29, v37
	v_bfe_u32 v24, v2, 26, 5
	v_lshlrev_b64 v[28:29], v28, v[0:1]
	v_sub_u32_e32 v0, 30, v37
	v_cmp_eq_u32_e32 vcc, 0, v24
	v_and_b32_e32 v28, 3, v28
	v_cndmask_b32_e32 v0, v24, v0, vcc
	v_and_b32_e32 v2, 0x80000000, v2
	v_cndmask_b32_e32 v24, v27, v28, vcc
	v_lshl_add_u32 v0, v0, 23, v2
	v_lshl_or_b32 v0, v24, 21, v0
	v_add_u32_e32 v24, 0x38000000, v0
                                        ; implicit-def: $vgpr27
.LBB0_1116:                             ;   in Loop: Header=BB0_900 Depth=2
	s_andn2_saveexec_b64 s[74:75], s[74:75]
; %bb.1117:                             ;   in Loop: Header=BB0_900 Depth=2
	v_cmp_lt_i32_e32 vcc, -1, v2
	v_cndmask_b32_e32 v0, v8, v54, vcc
	v_cmp_eq_u32_e32 vcc, 0, v27
	v_cndmask_b32_e32 v24, v55, v0, vcc
; %bb.1118:                             ;   in Loop: Header=BB0_900 Depth=2
	s_or_b64 exec, exec, s[74:75]
.LBB0_1119:                             ;   in Loop: Header=BB0_900 Depth=2
	s_or_b64 exec, exec, s[72:73]
.LBB0_1120:                             ;   in Loop: Header=BB0_900 Depth=2
	s_or_b64 exec, exec, s[16:17]
	v_mul_f32_e32 v27, v62, v24
	v_and_b32_e32 v28, 0x7f800000, v27
	v_mov_b32_e32 v29, v3
	v_cmp_ne_u64_e32 vcc, s[56:57], v[28:29]
	v_and_b32_e32 v2, 0x7fffff, v27
                                        ; implicit-def: $vgpr24
	s_and_saveexec_b64 s[16:17], vcc
	s_xor_b64 s[72:73], exec, s[16:17]
	s_cbranch_execz .LBB0_1134
; %bb.1121:                             ;   in Loop: Header=BB0_900 Depth=2
	v_and_b32_e32 v28, 0x7fffffff, v27
	v_mov_b32_e32 v29, v3
	v_cmp_gt_u64_e32 vcc, s[58:59], v[28:29]
	v_and_b32_sdwa v0, v27, s48 dst_sel:DWORD dst_unused:UNUSED_PAD src0_sel:BYTE_3 src1_sel:DWORD
                                        ; implicit-def: $vgpr24
	s_and_saveexec_b64 s[16:17], vcc
	s_xor_b64 s[74:75], exec, s[16:17]
	s_cbranch_execz .LBB0_1131
; %bb.1122:                             ;   in Loop: Header=BB0_900 Depth=2
	v_mov_b32_e32 v24, 0
	v_cmp_ne_u32_e32 vcc, 0, v27
	s_and_saveexec_b64 s[76:77], vcc
	s_cbranch_execz .LBB0_1130
; %bb.1123:                             ;   in Loop: Header=BB0_900 Depth=2
	v_bfe_u32 v24, v27, 23, 8
	v_cmp_gt_u32_e64 s[16:17], s49, v24
	v_sub_u32_e32 v27, 0x71, v24
	v_cmp_eq_u32_e32 vcc, 0, v24
	v_cndmask_b32_e64 v27, 0, v27, s[16:17]
	v_cndmask_b32_e32 v37, v27, v12, vcc
	v_or_b32_e32 v28, 0x800000, v2
	v_add_u32_e32 v27, 21, v37
	v_cndmask_b32_e32 v2, v28, v2, vcc
	v_lshlrev_b64 v[27:28], v27, -1
	v_add_u32_e32 v29, 20, v37
	v_lshlrev_b64 v[38:39], v29, 1
	v_bfi_b32 v28, v28, 0, 0
	v_bfi_b32 v27, v27, 0, v2
	v_cmp_eq_u64_e64 s[16:17], v[27:28], v[38:39]
	v_lshrrev_b64 v[27:28], v37, v[2:3]
	v_mov_b32_e32 v29, v28
	v_mov_b32_e32 v28, v27
	s_and_saveexec_b64 s[78:79], s[16:17]
; %bb.1124:                             ;   in Loop: Header=BB0_900 Depth=2
	v_bfe_u32 v2, v27, 21, 1
	v_add_co_u32_e64 v2, s[16:17], v27, v2
	v_add_co_u32_e64 v28, s[16:17], -1, v2
; %bb.1125:                             ;   in Loop: Header=BB0_900 Depth=2
	s_or_b64 exec, exec, s[78:79]
	v_add_u32_e32 v2, 0xffffff81, v24
	v_cndmask_b32_e32 v2, v2, v48, vcc
	v_lshrrev_b32_e32 v24, 23, v27
	v_add3_u32 v37, v37, v2, v24
	v_add_u32_e32 v29, 14, v37
	v_and_b32_e32 v2, 0x1fffff, v28
	v_add_u32_e32 v2, v2, v27
	v_cmp_ne_u32_e32 vcc, 0, v29
                                        ; implicit-def: $vgpr27_vgpr28
                                        ; implicit-def: $vgpr24
	s_and_saveexec_b64 s[16:17], vcc
	s_xor_b64 s[16:17], exec, s[16:17]
; %bb.1126:                             ;   in Loop: Header=BB0_900 Depth=2
	v_cmp_lt_u64_e32 vcc, s[60:61], v[2:3]
	v_add_u32_e32 v24, 15, v37
	v_cndmask_b32_e64 v27, 0, 1, vcc
	v_cndmask_b32_e32 v24, v29, v24, vcc
	v_lshrrev_b64 v[27:28], v27, v[2:3]
; %bb.1127:                             ;   in Loop: Header=BB0_900 Depth=2
	s_andn2_saveexec_b64 s[16:17], s[16:17]
; %bb.1128:                             ;   in Loop: Header=BB0_900 Depth=2
	v_mov_b32_e32 v28, v3
	v_bfe_u32 v24, v2, 23, 1
	v_mov_b32_e32 v27, v2
; %bb.1129:                             ;   in Loop: Header=BB0_900 Depth=2
	s_or_b64 exec, exec, s[16:17]
	v_lshrrev_b64 v[27:28], 21, v[27:28]
	v_cmp_gt_i32_e32 vcc, 32, v24
	v_cndmask_b32_e32 v28, 0, v28, vcc
	v_cndmask_b32_e32 v27, 3, v27, vcc
	v_min_i32_e32 v2, 31, v24
	v_cmp_eq_u64_e64 s[16:17], 0, v[27:28]
	v_lshlrev_b32_e32 v2, 2, v2
	v_cmp_eq_u32_e32 vcc, 0, v24
	v_and_b32_e32 v2, 0xfc, v2
	v_and_or_b32 v2, v27, 3, v2
	s_and_b64 s[16:17], vcc, s[16:17]
	v_cndmask_b32_e64 v2, v2, 0, s[16:17]
	v_or_b32_e32 v24, v2, v0
.LBB0_1130:                             ;   in Loop: Header=BB0_900 Depth=2
	s_or_b64 exec, exec, s[76:77]
                                        ; implicit-def: $vgpr0
.LBB0_1131:                             ;   in Loop: Header=BB0_900 Depth=2
	s_andn2_saveexec_b64 s[16:17], s[74:75]
; %bb.1132:                             ;   in Loop: Header=BB0_900 Depth=2
	v_or_b32_e32 v24, 0x7b, v0
; %bb.1133:                             ;   in Loop: Header=BB0_900 Depth=2
	s_or_b64 exec, exec, s[16:17]
                                        ; implicit-def: $vgpr27
.LBB0_1134:                             ;   in Loop: Header=BB0_900 Depth=2
	s_andn2_saveexec_b64 s[16:17], s[72:73]
	s_cbranch_execz .LBB0_1140
; %bb.1135:                             ;   in Loop: Header=BB0_900 Depth=2
	v_cmp_ne_u64_e32 vcc, 0, v[2:3]
                                        ; implicit-def: $vgpr24
	s_and_saveexec_b64 s[72:73], vcc
	s_xor_b64 s[72:73], exec, s[72:73]
; %bb.1136:                             ;   in Loop: Header=BB0_900 Depth=2
	v_or_b32_sdwa v24, v27, s50 dst_sel:DWORD dst_unused:UNUSED_PAD src0_sel:BYTE_3 src1_sel:DWORD
                                        ; implicit-def: $vgpr27
; %bb.1137:                             ;   in Loop: Header=BB0_900 Depth=2
	s_andn2_saveexec_b64 s[72:73], s[72:73]
; %bb.1138:                             ;   in Loop: Header=BB0_900 Depth=2
	v_cmp_lt_i32_e32 vcc, -1, v27
	v_cndmask_b32_e32 v24, v49, v11, vcc
; %bb.1139:                             ;   in Loop: Header=BB0_900 Depth=2
	s_or_b64 exec, exec, s[72:73]
.LBB0_1140:                             ;   in Loop: Header=BB0_900 Depth=2
	s_or_b64 exec, exec, s[16:17]
	s_waitcnt vmcnt(0)
	v_cmp_ne_u16_sdwa s[72:73], v17, v3 src0_sel:BYTE_0 src1_sel:DWORD
	v_mov_b32_e32 v28, 0
	v_mov_b32_e32 v27, 0
	s_and_saveexec_b64 s[16:17], s[72:73]
	s_cbranch_execz .LBB0_1148
; %bb.1141:                             ;   in Loop: Header=BB0_900 Depth=2
	v_cmp_ne_u16_sdwa s[74:75], sext(v17), s38 src0_sel:BYTE_0 src1_sel:DWORD
	v_bfrev_b32_e32 v27, 1
	s_and_saveexec_b64 s[72:73], s[74:75]
	s_cbranch_execz .LBB0_1147
; %bb.1142:                             ;   in Loop: Header=BB0_900 Depth=2
	v_and_b32_e32 v2, 0x7c, v17
	v_and_b32_e32 v0, 3, v17
	v_cmp_ne_u32_e32 vcc, s39, v2
                                        ; implicit-def: $vgpr27
	s_and_saveexec_b64 s[74:75], vcc
	s_xor_b64 s[74:75], exec, s[74:75]
	s_cbranch_execz .LBB0_1144
; %bb.1143:                             ;   in Loop: Header=BB0_900 Depth=2
	v_ffbh_u32_e32 v27, v0
	v_min_u32_e32 v27, 32, v27
	v_bfe_u32 v2, v17, 2, 5
	v_subrev_u32_e32 v29, 29, v27
	v_lshlrev_b64 v[37:38], v29, v[17:18]
	v_sub_u32_e32 v18, 30, v27
	v_cmp_eq_u32_e32 vcc, 0, v2
	v_cndmask_b32_e32 v2, v2, v18, vcc
	v_lshlrev_b32_e32 v18, 24, v17
	v_and_b32_e32 v27, 3, v37
	v_and_b32_e32 v18, 0x80000000, v18
	v_cndmask_b32_e32 v0, v0, v27, vcc
	v_lshl_add_u32 v2, v2, 23, v18
	v_lshl_or_b32 v0, v0, 21, v2
	v_add_u32_e32 v27, 0x38000000, v0
                                        ; implicit-def: $vgpr0
.LBB0_1144:                             ;   in Loop: Header=BB0_900 Depth=2
	s_andn2_saveexec_b64 s[74:75], s[74:75]
; %bb.1145:                             ;   in Loop: Header=BB0_900 Depth=2
	v_cmp_gt_i16_sdwa vcc, sext(v17), v7 src0_sel:BYTE_0 src1_sel:DWORD
	v_cndmask_b32_e32 v2, v8, v54, vcc
	v_cmp_eq_u32_e32 vcc, 0, v0
	v_cndmask_b32_e32 v27, v55, v2, vcc
; %bb.1146:                             ;   in Loop: Header=BB0_900 Depth=2
	s_or_b64 exec, exec, s[74:75]
.LBB0_1147:                             ;   in Loop: Header=BB0_900 Depth=2
	s_or_b64 exec, exec, s[72:73]
.LBB0_1148:                             ;   in Loop: Header=BB0_900 Depth=2
	s_or_b64 exec, exec, s[16:17]
	v_lshl_or_b32 v0, v23, 8, v10
	v_lshlrev_b32_e32 v2, 16, v31
	v_lshlrev_b32_e32 v18, 24, v36
	v_or3_b32 v2, v2, v18, v0
	v_cmp_ne_u32_e32 vcc, 0, v10
	s_and_saveexec_b64 s[72:73], vcc
	s_cbranch_execz .LBB0_1156
; %bb.1149:                             ;   in Loop: Header=BB0_900 Depth=2
	v_cmp_ne_u32_e32 vcc, s48, v10
	v_bfrev_b32_e32 v28, 1
	s_and_saveexec_b64 s[74:75], vcc
	s_cbranch_execz .LBB0_1155
; %bb.1150:                             ;   in Loop: Header=BB0_900 Depth=2
	v_and_b32_e32 v23, 0x7c, v10
	v_and_b32_e32 v18, 3, v10
	v_cmp_ne_u32_e32 vcc, s39, v23
                                        ; implicit-def: $vgpr28
	s_and_saveexec_b64 s[16:17], vcc
	s_xor_b64 s[16:17], exec, s[16:17]
	s_cbranch_execz .LBB0_1152
; %bb.1151:                             ;   in Loop: Header=BB0_900 Depth=2
	v_ffbh_u32_e32 v28, v18
	v_min_u32_e32 v31, 32, v28
	v_subrev_u32_e32 v28, 29, v31
	v_bfe_u32 v23, v10, 2, 5
	v_lshlrev_b64 v[28:29], v28, v[2:3]
	v_sub_u32_e32 v29, 30, v31
	v_cmp_eq_u32_e32 vcc, 0, v23
	v_lshlrev_b32_e32 v10, 24, v10
	v_and_b32_e32 v28, 3, v28
	v_cndmask_b32_e32 v23, v23, v29, vcc
	v_and_b32_e32 v10, 0x80000000, v10
	v_cndmask_b32_e32 v18, v18, v28, vcc
	v_lshl_add_u32 v10, v23, 23, v10
	v_lshl_or_b32 v10, v18, 21, v10
	v_add_u32_e32 v28, 0x38000000, v10
                                        ; implicit-def: $vgpr18
                                        ; implicit-def: $vgpr10
.LBB0_1152:                             ;   in Loop: Header=BB0_900 Depth=2
	s_andn2_saveexec_b64 s[76:77], s[16:17]
; %bb.1153:                             ;   in Loop: Header=BB0_900 Depth=2
	v_and_b32_e32 v10, 0x80, v10
	v_cmp_eq_u32_e64 s[16:17], 0, v10
	v_cmp_eq_u32_e32 vcc, 0, v18
	v_cndmask_b32_e64 v10, v8, v54, s[16:17]
	v_cndmask_b32_e32 v28, v55, v10, vcc
; %bb.1154:                             ;   in Loop: Header=BB0_900 Depth=2
	s_or_b64 exec, exec, s[76:77]
.LBB0_1155:                             ;   in Loop: Header=BB0_900 Depth=2
	s_or_b64 exec, exec, s[74:75]
.LBB0_1156:                             ;   in Loop: Header=BB0_900 Depth=2
	s_or_b64 exec, exec, s[72:73]
	v_add_f32_e32 v23, v27, v28
	v_and_b32_e32 v28, 0x7f800000, v23
	v_mov_b32_e32 v29, v3
	v_cmp_ne_u64_e32 vcc, s[56:57], v[28:29]
	v_and_b32_e32 v27, 0x7fffff, v23
	v_mov_b32_e32 v28, v3
                                        ; implicit-def: $vgpr10
	s_and_saveexec_b64 s[16:17], vcc
	s_xor_b64 s[72:73], exec, s[16:17]
	s_cbranch_execz .LBB0_1170
; %bb.1157:                             ;   in Loop: Header=BB0_900 Depth=2
	v_and_b32_e32 v36, 0x7fffffff, v23
	v_mov_b32_e32 v37, v3
	v_cmp_gt_u64_e32 vcc, s[58:59], v[36:37]
	v_and_b32_sdwa v18, v23, s48 dst_sel:DWORD dst_unused:UNUSED_PAD src0_sel:BYTE_3 src1_sel:DWORD
                                        ; implicit-def: $vgpr10
	s_and_saveexec_b64 s[16:17], vcc
	s_xor_b64 s[74:75], exec, s[16:17]
	s_cbranch_execz .LBB0_1167
; %bb.1158:                             ;   in Loop: Header=BB0_900 Depth=2
	v_mov_b32_e32 v10, 0
	v_cmp_ne_u32_e32 vcc, 0, v23
	s_and_saveexec_b64 s[76:77], vcc
	s_cbranch_execz .LBB0_1166
; %bb.1159:                             ;   in Loop: Header=BB0_900 Depth=2
	v_bfe_u32 v10, v23, 23, 8
	v_cmp_gt_u32_e64 s[16:17], s49, v10
	v_sub_u32_e32 v23, 0x71, v10
	v_cmp_eq_u32_e32 vcc, 0, v10
	v_cndmask_b32_e64 v23, 0, v23, s[16:17]
	v_or_b32_e32 v29, 0x800000, v27
	v_cndmask_b32_e32 v23, v23, v12, vcc
	v_cndmask_b32_e32 v27, v29, v27, vcc
	v_add_u32_e32 v29, 21, v23
	v_lshlrev_b64 v[36:37], v29, -1
	v_add_u32_e32 v29, 20, v23
	v_bfi_b32 v36, v36, 0, v27
	v_lshlrev_b64 v[38:39], v29, 1
	v_lshrrev_b64 v[27:28], v23, v[27:28]
	v_bfi_b32 v37, v37, 0, 0
	v_cmp_eq_u64_e64 s[16:17], v[36:37], v[38:39]
	v_mov_b32_e32 v29, v28
	v_mov_b32_e32 v28, v27
	s_and_saveexec_b64 s[78:79], s[16:17]
; %bb.1160:                             ;   in Loop: Header=BB0_900 Depth=2
	v_bfe_u32 v28, v27, 21, 1
	v_add_co_u32_e64 v28, s[16:17], v27, v28
	v_add_co_u32_e64 v28, s[16:17], -1, v28
; %bb.1161:                             ;   in Loop: Header=BB0_900 Depth=2
	s_or_b64 exec, exec, s[78:79]
	v_add_u32_e32 v10, 0xffffff81, v10
	v_cndmask_b32_e32 v10, v10, v48, vcc
	v_lshrrev_b32_e32 v29, 23, v27
	v_add3_u32 v29, v23, v10, v29
	v_add_u32_e32 v23, 14, v29
	v_and_b32_e32 v10, 0x1fffff, v28
	v_add_u32_e32 v27, v10, v27
	v_mov_b32_e32 v28, v3
	v_cmp_ne_u32_e32 vcc, 0, v23
                                        ; implicit-def: $vgpr10
	s_and_saveexec_b64 s[16:17], vcc
	s_xor_b64 s[16:17], exec, s[16:17]
; %bb.1162:                             ;   in Loop: Header=BB0_900 Depth=2
	v_cmp_lt_u64_e32 vcc, s[60:61], v[27:28]
	v_add_u32_e32 v10, 15, v29
	v_cndmask_b32_e32 v10, v23, v10, vcc
	v_cndmask_b32_e64 v23, 0, 1, vcc
	v_lshrrev_b64 v[27:28], v23, v[27:28]
; %bb.1163:                             ;   in Loop: Header=BB0_900 Depth=2
	s_andn2_saveexec_b64 s[16:17], s[16:17]
; %bb.1164:                             ;   in Loop: Header=BB0_900 Depth=2
	v_bfe_u32 v10, v27, 23, 1
; %bb.1165:                             ;   in Loop: Header=BB0_900 Depth=2
	s_or_b64 exec, exec, s[16:17]
	v_lshrrev_b64 v[27:28], 21, v[27:28]
	v_cmp_gt_i32_e32 vcc, 32, v10
	v_cndmask_b32_e32 v28, 0, v28, vcc
	v_cndmask_b32_e32 v27, 3, v27, vcc
	v_cmp_eq_u32_e32 vcc, 0, v10
	v_min_i32_e32 v10, 31, v10
	v_cmp_eq_u64_e64 s[16:17], 0, v[27:28]
	v_lshlrev_b32_e32 v10, 2, v10
	v_and_b32_e32 v10, 0xfc, v10
	v_and_or_b32 v10, v27, 3, v10
	s_and_b64 s[16:17], vcc, s[16:17]
	v_cndmask_b32_e64 v10, v10, 0, s[16:17]
	v_or_b32_e32 v10, v10, v18
.LBB0_1166:                             ;   in Loop: Header=BB0_900 Depth=2
	s_or_b64 exec, exec, s[76:77]
                                        ; implicit-def: $vgpr18
.LBB0_1167:                             ;   in Loop: Header=BB0_900 Depth=2
	s_andn2_saveexec_b64 s[16:17], s[74:75]
; %bb.1168:                             ;   in Loop: Header=BB0_900 Depth=2
	v_or_b32_e32 v10, 0x7b, v18
; %bb.1169:                             ;   in Loop: Header=BB0_900 Depth=2
	s_or_b64 exec, exec, s[16:17]
                                        ; implicit-def: $vgpr23
                                        ; implicit-def: $vgpr27_vgpr28
.LBB0_1170:                             ;   in Loop: Header=BB0_900 Depth=2
	s_andn2_saveexec_b64 s[16:17], s[72:73]
	s_cbranch_execz .LBB0_1176
; %bb.1171:                             ;   in Loop: Header=BB0_900 Depth=2
	v_cmp_ne_u64_e32 vcc, 0, v[27:28]
                                        ; implicit-def: $vgpr10
	s_and_saveexec_b64 s[72:73], vcc
	s_xor_b64 s[72:73], exec, s[72:73]
; %bb.1172:                             ;   in Loop: Header=BB0_900 Depth=2
	v_or_b32_sdwa v10, v23, s50 dst_sel:DWORD dst_unused:UNUSED_PAD src0_sel:BYTE_3 src1_sel:DWORD
                                        ; implicit-def: $vgpr23
; %bb.1173:                             ;   in Loop: Header=BB0_900 Depth=2
	s_andn2_saveexec_b64 s[72:73], s[72:73]
; %bb.1174:                             ;   in Loop: Header=BB0_900 Depth=2
	v_cmp_lt_i32_e32 vcc, -1, v23
	v_cndmask_b32_e32 v10, v49, v11, vcc
; %bb.1175:                             ;   in Loop: Header=BB0_900 Depth=2
	s_or_b64 exec, exec, s[72:73]
.LBB0_1176:                             ;   in Loop: Header=BB0_900 Depth=2
	s_or_b64 exec, exec, s[16:17]
	v_lshrrev_b16_e32 v27, 8, v17
	v_cmp_ne_u16_e32 vcc, 0, v27
	v_mov_b32_e32 v18, 0
	v_mov_b32_e32 v23, 0
	s_and_saveexec_b64 s[16:17], vcc
	s_cbranch_execz .LBB0_1184
; %bb.1177:                             ;   in Loop: Header=BB0_900 Depth=2
	v_cmp_ne_u16_e32 vcc, s48, v27
	v_bfrev_b32_e32 v23, 1
	s_and_saveexec_b64 s[72:73], vcc
	s_cbranch_execz .LBB0_1183
; %bb.1178:                             ;   in Loop: Header=BB0_900 Depth=2
	v_and_b32_e32 v23, 0x7c, v27
	v_and_b32_e32 v29, 3, v27
	v_cmp_ne_u32_e32 vcc, s39, v23
                                        ; implicit-def: $vgpr23
	s_and_saveexec_b64 s[74:75], vcc
	s_xor_b64 s[74:75], exec, s[74:75]
	s_cbranch_execz .LBB0_1180
; %bb.1179:                             ;   in Loop: Header=BB0_900 Depth=2
	v_ffbh_u32_e32 v31, v29
	v_min_u32_e32 v31, 32, v31
	v_mov_b32_e32 v28, v3
	v_subrev_u32_e32 v36, 29, v31
	v_bfe_u32 v23, v27, 2, 5
	v_lshlrev_b64 v[27:28], v36, v[27:28]
	v_sub_u32_e32 v28, 30, v31
	v_cmp_eq_u32_e32 vcc, 0, v23
	v_cndmask_b32_e32 v23, v23, v28, vcc
	v_lshlrev_b32_e32 v28, 16, v17
	v_and_b32_e32 v27, 3, v27
	v_and_b32_e32 v28, 0x80000000, v28
	v_cndmask_b32_e32 v27, v29, v27, vcc
	v_lshl_add_u32 v23, v23, 23, v28
	v_lshl_or_b32 v23, v27, 21, v23
	v_add_u32_e32 v23, 0x38000000, v23
                                        ; implicit-def: $vgpr29
.LBB0_1180:                             ;   in Loop: Header=BB0_900 Depth=2
	s_andn2_saveexec_b64 s[74:75], s[74:75]
; %bb.1181:                             ;   in Loop: Header=BB0_900 Depth=2
	v_cmp_lt_i16_e32 vcc, -1, v17
	v_cndmask_b32_e32 v23, v8, v54, vcc
	v_cmp_eq_u32_e32 vcc, 0, v29
	v_cndmask_b32_e32 v23, v55, v23, vcc
; %bb.1182:                             ;   in Loop: Header=BB0_900 Depth=2
	s_or_b64 exec, exec, s[74:75]
.LBB0_1183:                             ;   in Loop: Header=BB0_900 Depth=2
	s_or_b64 exec, exec, s[72:73]
.LBB0_1184:                             ;   in Loop: Header=BB0_900 Depth=2
	s_or_b64 exec, exec, s[16:17]
	v_lshrrev_b16_e32 v27, 8, v0
	v_cmp_ne_u16_e32 vcc, 0, v27
	s_and_saveexec_b64 s[16:17], vcc
	s_cbranch_execz .LBB0_1192
; %bb.1185:                             ;   in Loop: Header=BB0_900 Depth=2
	v_cmp_ne_u16_e32 vcc, s48, v27
	v_bfrev_b32_e32 v18, 1
	s_and_saveexec_b64 s[72:73], vcc
	s_cbranch_execz .LBB0_1191
; %bb.1186:                             ;   in Loop: Header=BB0_900 Depth=2
	v_and_b32_e32 v18, 0x7c, v27
	v_and_b32_e32 v29, 3, v27
	v_cmp_ne_u32_e32 vcc, s39, v18
                                        ; implicit-def: $vgpr18
	s_and_saveexec_b64 s[74:75], vcc
	s_xor_b64 s[74:75], exec, s[74:75]
	s_cbranch_execz .LBB0_1188
; %bb.1187:                             ;   in Loop: Header=BB0_900 Depth=2
	v_ffbh_u32_e32 v31, v29
	v_min_u32_e32 v31, 32, v31
	v_mov_b32_e32 v28, v3
	v_subrev_u32_e32 v36, 29, v31
	v_bfe_u32 v18, v27, 2, 5
	v_lshlrev_b64 v[27:28], v36, v[27:28]
	v_sub_u32_e32 v28, 30, v31
	v_cmp_eq_u32_e32 vcc, 0, v18
	v_lshlrev_b32_e32 v0, 16, v0
	v_and_b32_e32 v27, 3, v27
	v_cndmask_b32_e32 v18, v18, v28, vcc
	v_and_b32_e32 v0, 0x80000000, v0
	v_cndmask_b32_e32 v27, v29, v27, vcc
	v_lshl_add_u32 v0, v18, 23, v0
	v_lshl_or_b32 v0, v27, 21, v0
	v_add_u32_e32 v18, 0x38000000, v0
                                        ; implicit-def: $vgpr29
                                        ; implicit-def: $vgpr0
.LBB0_1188:                             ;   in Loop: Header=BB0_900 Depth=2
	s_andn2_saveexec_b64 s[74:75], s[74:75]
; %bb.1189:                             ;   in Loop: Header=BB0_900 Depth=2
	v_cmp_lt_i16_e32 vcc, -1, v0
	v_cndmask_b32_e32 v0, v8, v54, vcc
	v_cmp_eq_u32_e32 vcc, 0, v29
	v_cndmask_b32_e32 v18, v55, v0, vcc
; %bb.1190:                             ;   in Loop: Header=BB0_900 Depth=2
	s_or_b64 exec, exec, s[74:75]
.LBB0_1191:                             ;   in Loop: Header=BB0_900 Depth=2
	s_or_b64 exec, exec, s[72:73]
.LBB0_1192:                             ;   in Loop: Header=BB0_900 Depth=2
	s_or_b64 exec, exec, s[16:17]
	v_add_f32_e32 v18, v23, v18
	v_and_b32_e32 v28, 0x7f800000, v18
	v_mov_b32_e32 v29, v3
	v_cmp_ne_u64_e32 vcc, s[56:57], v[28:29]
	v_and_b32_e32 v27, 0x7fffff, v18
	v_mov_b32_e32 v28, v3
                                        ; implicit-def: $vgpr31
	s_and_saveexec_b64 s[16:17], vcc
	s_xor_b64 s[72:73], exec, s[16:17]
	s_cbranch_execz .LBB0_1206
; %bb.1193:                             ;   in Loop: Header=BB0_900 Depth=2
	v_and_b32_e32 v36, 0x7fffffff, v18
	v_mov_b32_e32 v37, v3
	v_cmp_gt_u64_e32 vcc, s[58:59], v[36:37]
	v_and_b32_sdwa v0, v18, s48 dst_sel:DWORD dst_unused:UNUSED_PAD src0_sel:BYTE_3 src1_sel:DWORD
                                        ; implicit-def: $vgpr31
	s_and_saveexec_b64 s[16:17], vcc
	s_xor_b64 s[74:75], exec, s[16:17]
	s_cbranch_execz .LBB0_1203
; %bb.1194:                             ;   in Loop: Header=BB0_900 Depth=2
	v_mov_b32_e32 v31, 0
	v_cmp_ne_u32_e32 vcc, 0, v18
	s_and_saveexec_b64 s[76:77], vcc
	s_cbranch_execz .LBB0_1202
; %bb.1195:                             ;   in Loop: Header=BB0_900 Depth=2
	v_bfe_u32 v18, v18, 23, 8
	v_cmp_gt_u32_e64 s[16:17], s49, v18
	v_sub_u32_e32 v23, 0x71, v18
	v_cmp_eq_u32_e32 vcc, 0, v18
	v_cndmask_b32_e64 v23, 0, v23, s[16:17]
	v_or_b32_e32 v29, 0x800000, v27
	v_cndmask_b32_e32 v23, v23, v12, vcc
	v_cndmask_b32_e32 v27, v29, v27, vcc
	v_add_u32_e32 v29, 21, v23
	v_lshlrev_b64 v[36:37], v29, -1
	v_add_u32_e32 v29, 20, v23
	v_bfi_b32 v36, v36, 0, v27
	v_lshlrev_b64 v[38:39], v29, 1
	v_lshrrev_b64 v[27:28], v23, v[27:28]
	v_bfi_b32 v37, v37, 0, 0
	v_cmp_eq_u64_e64 s[16:17], v[36:37], v[38:39]
	v_mov_b32_e32 v29, v28
	v_mov_b32_e32 v28, v27
	s_and_saveexec_b64 s[78:79], s[16:17]
; %bb.1196:                             ;   in Loop: Header=BB0_900 Depth=2
	v_bfe_u32 v28, v27, 21, 1
	v_add_co_u32_e64 v28, s[16:17], v27, v28
	v_add_co_u32_e64 v28, s[16:17], -1, v28
; %bb.1197:                             ;   in Loop: Header=BB0_900 Depth=2
	s_or_b64 exec, exec, s[78:79]
	v_add_u32_e32 v18, 0xffffff81, v18
	v_cndmask_b32_e32 v18, v18, v48, vcc
	v_lshrrev_b32_e32 v29, 23, v27
	v_add3_u32 v29, v23, v18, v29
	v_add_u32_e32 v23, 14, v29
	v_and_b32_e32 v18, 0x1fffff, v28
	v_add_u32_e32 v27, v18, v27
	v_mov_b32_e32 v28, v3
	v_cmp_ne_u32_e32 vcc, 0, v23
                                        ; implicit-def: $vgpr18
	s_and_saveexec_b64 s[16:17], vcc
	s_xor_b64 s[16:17], exec, s[16:17]
; %bb.1198:                             ;   in Loop: Header=BB0_900 Depth=2
	v_cmp_lt_u64_e32 vcc, s[60:61], v[27:28]
	v_add_u32_e32 v18, 15, v29
	v_cndmask_b32_e32 v18, v23, v18, vcc
	v_cndmask_b32_e64 v23, 0, 1, vcc
	v_lshrrev_b64 v[27:28], v23, v[27:28]
; %bb.1199:                             ;   in Loop: Header=BB0_900 Depth=2
	s_andn2_saveexec_b64 s[16:17], s[16:17]
; %bb.1200:                             ;   in Loop: Header=BB0_900 Depth=2
	v_bfe_u32 v18, v27, 23, 1
; %bb.1201:                             ;   in Loop: Header=BB0_900 Depth=2
	s_or_b64 exec, exec, s[16:17]
	v_lshrrev_b64 v[27:28], 21, v[27:28]
	v_cmp_gt_i32_e32 vcc, 32, v18
	v_cndmask_b32_e32 v28, 0, v28, vcc
	v_cndmask_b32_e32 v27, 3, v27, vcc
	v_cmp_eq_u32_e32 vcc, 0, v18
	v_min_i32_e32 v18, 31, v18
	v_cmp_eq_u64_e64 s[16:17], 0, v[27:28]
	v_lshlrev_b32_e32 v18, 2, v18
	v_and_b32_e32 v18, 0xfc, v18
	v_and_or_b32 v18, v27, 3, v18
	s_and_b64 s[16:17], vcc, s[16:17]
	v_cndmask_b32_e64 v18, v18, 0, s[16:17]
	v_or_b32_e32 v31, v18, v0
.LBB0_1202:                             ;   in Loop: Header=BB0_900 Depth=2
	s_or_b64 exec, exec, s[76:77]
                                        ; implicit-def: $vgpr0
.LBB0_1203:                             ;   in Loop: Header=BB0_900 Depth=2
	s_andn2_saveexec_b64 s[16:17], s[74:75]
; %bb.1204:                             ;   in Loop: Header=BB0_900 Depth=2
	v_or_b32_e32 v31, 0x7b, v0
; %bb.1205:                             ;   in Loop: Header=BB0_900 Depth=2
	s_or_b64 exec, exec, s[16:17]
                                        ; implicit-def: $vgpr18
                                        ; implicit-def: $vgpr27_vgpr28
.LBB0_1206:                             ;   in Loop: Header=BB0_900 Depth=2
	s_andn2_saveexec_b64 s[16:17], s[72:73]
	s_cbranch_execz .LBB0_1212
; %bb.1207:                             ;   in Loop: Header=BB0_900 Depth=2
	v_cmp_ne_u64_e32 vcc, 0, v[27:28]
                                        ; implicit-def: $vgpr31
	s_and_saveexec_b64 s[72:73], vcc
	s_xor_b64 s[72:73], exec, s[72:73]
; %bb.1208:                             ;   in Loop: Header=BB0_900 Depth=2
	v_or_b32_sdwa v31, v18, s50 dst_sel:DWORD dst_unused:UNUSED_PAD src0_sel:BYTE_3 src1_sel:DWORD
                                        ; implicit-def: $vgpr18
; %bb.1209:                             ;   in Loop: Header=BB0_900 Depth=2
	s_andn2_saveexec_b64 s[72:73], s[72:73]
; %bb.1210:                             ;   in Loop: Header=BB0_900 Depth=2
	v_cmp_lt_i32_e32 vcc, -1, v18
	v_cndmask_b32_e32 v31, v49, v11, vcc
; %bb.1211:                             ;   in Loop: Header=BB0_900 Depth=2
	s_or_b64 exec, exec, s[72:73]
.LBB0_1212:                             ;   in Loop: Header=BB0_900 Depth=2
	s_or_b64 exec, exec, s[16:17]
	v_lshrrev_b32_e32 v0, 16, v17
	v_cmp_ne_u16_sdwa s[72:73], v0, v3 src0_sel:BYTE_0 src1_sel:DWORD
	v_mov_b32_e32 v23, 0
	v_mov_b32_e32 v18, 0
	s_and_saveexec_b64 s[16:17], s[72:73]
	s_cbranch_execz .LBB0_1220
; %bb.1213:                             ;   in Loop: Header=BB0_900 Depth=2
	v_cmp_ne_u16_sdwa s[74:75], v0, s48 src0_sel:BYTE_0 src1_sel:DWORD
	v_bfrev_b32_e32 v18, 1
	s_and_saveexec_b64 s[72:73], s[74:75]
	s_cbranch_execz .LBB0_1219
; %bb.1214:                             ;   in Loop: Header=BB0_900 Depth=2
	v_and_b32_e32 v18, 0x7c0000, v17
	v_bfe_u32 v27, v17, 16, 2
	v_cmp_ne_u32_e32 vcc, s51, v18
                                        ; implicit-def: $vgpr18
	s_and_saveexec_b64 s[74:75], vcc
	s_xor_b64 s[74:75], exec, s[74:75]
	s_cbranch_execz .LBB0_1216
; %bb.1215:                             ;   in Loop: Header=BB0_900 Depth=2
	v_ffbh_u32_e32 v28, v27
	v_min_u32_e32 v36, 32, v28
	v_subrev_u32_e32 v28, 29, v36
	v_lshlrev_b64 v[28:29], v28, v[0:1]
	v_bfe_u32 v18, v17, 18, 5
	v_sub_u32_e32 v0, 30, v36
	v_and_b32_e32 v28, 3, v28
	v_cmp_eq_u32_e32 vcc, 0, v18
	v_cndmask_b32_e32 v0, v18, v0, vcc
	v_cndmask_b32_e32 v18, v27, v28, vcc
	v_lshlrev_b32_e32 v27, 8, v17
	v_and_b32_e32 v27, 0x80000000, v27
	v_lshl_add_u32 v0, v0, 23, v27
	v_lshl_or_b32 v0, v18, 21, v0
	v_add_u32_e32 v18, 0x38000000, v0
                                        ; implicit-def: $vgpr27
                                        ; implicit-def: $vgpr0
.LBB0_1216:                             ;   in Loop: Header=BB0_900 Depth=2
	s_andn2_saveexec_b64 s[74:75], s[74:75]
; %bb.1217:                             ;   in Loop: Header=BB0_900 Depth=2
	v_cmp_gt_i16_sdwa vcc, sext(v0), v7 src0_sel:BYTE_0 src1_sel:DWORD
	v_cndmask_b32_e32 v0, v8, v54, vcc
	v_cmp_eq_u32_e32 vcc, 0, v27
	v_cndmask_b32_e32 v18, v55, v0, vcc
; %bb.1218:                             ;   in Loop: Header=BB0_900 Depth=2
	s_or_b64 exec, exec, s[74:75]
.LBB0_1219:                             ;   in Loop: Header=BB0_900 Depth=2
	s_or_b64 exec, exec, s[72:73]
.LBB0_1220:                             ;   in Loop: Header=BB0_900 Depth=2
	s_or_b64 exec, exec, s[16:17]
	v_and_b32_sdwa v27, v2, s37 dst_sel:DWORD dst_unused:UNUSED_PAD src0_sel:WORD_1 src1_sel:DWORD
	v_lshrrev_b32_e32 v0, 16, v2
	v_cmp_ne_u16_e32 vcc, 0, v27
	s_and_saveexec_b64 s[16:17], vcc
	s_cbranch_execz .LBB0_1228
; %bb.1221:                             ;   in Loop: Header=BB0_900 Depth=2
	v_cmp_ne_u16_e32 vcc, s48, v27
	v_bfrev_b32_e32 v23, 1
	s_and_saveexec_b64 s[72:73], vcc
	s_cbranch_execz .LBB0_1227
; %bb.1222:                             ;   in Loop: Header=BB0_900 Depth=2
	v_and_b32_e32 v23, 0x7c0000, v2
	v_bfe_u32 v27, v2, 16, 2
	v_cmp_ne_u32_e32 vcc, s51, v23
                                        ; implicit-def: $vgpr23
	s_and_saveexec_b64 s[74:75], vcc
	s_xor_b64 s[74:75], exec, s[74:75]
	s_cbranch_execz .LBB0_1224
; %bb.1223:                             ;   in Loop: Header=BB0_900 Depth=2
	v_ffbh_u32_e32 v28, v27
	v_min_u32_e32 v36, 32, v28
	v_lshrrev_b32_e32 v0, 16, v2
	v_subrev_u32_e32 v28, 29, v36
	v_lshlrev_b64 v[28:29], v28, v[0:1]
	v_bfe_u32 v23, v2, 18, 5
	v_sub_u32_e32 v0, 30, v36
	v_and_b32_e32 v28, 3, v28
	v_cmp_eq_u32_e32 vcc, 0, v23
	v_cndmask_b32_e32 v0, v23, v0, vcc
	v_cndmask_b32_e32 v23, v27, v28, vcc
	v_lshlrev_b32_e32 v27, 8, v2
	v_and_b32_e32 v27, 0x80000000, v27
	v_lshl_add_u32 v0, v0, 23, v27
	v_lshl_or_b32 v0, v23, 21, v0
	v_add_u32_e32 v23, 0x38000000, v0
                                        ; implicit-def: $vgpr27
                                        ; implicit-def: $vgpr0
.LBB0_1224:                             ;   in Loop: Header=BB0_900 Depth=2
	s_andn2_saveexec_b64 s[74:75], s[74:75]
; %bb.1225:                             ;   in Loop: Header=BB0_900 Depth=2
	v_cmp_gt_i16_sdwa vcc, sext(v0), v7 src0_sel:BYTE_0 src1_sel:DWORD
	v_cndmask_b32_e32 v0, v8, v54, vcc
	v_cmp_eq_u32_e32 vcc, 0, v27
	v_cndmask_b32_e32 v23, v55, v0, vcc
; %bb.1226:                             ;   in Loop: Header=BB0_900 Depth=2
	s_or_b64 exec, exec, s[74:75]
.LBB0_1227:                             ;   in Loop: Header=BB0_900 Depth=2
	s_or_b64 exec, exec, s[72:73]
.LBB0_1228:                             ;   in Loop: Header=BB0_900 Depth=2
	s_or_b64 exec, exec, s[16:17]
	v_add_f32_e32 v18, v18, v23
	v_and_b32_e32 v28, 0x7f800000, v18
	v_mov_b32_e32 v29, v3
	v_cmp_ne_u64_e32 vcc, s[56:57], v[28:29]
	v_and_b32_e32 v27, 0x7fffff, v18
	v_mov_b32_e32 v28, v3
                                        ; implicit-def: $vgpr29
	s_and_saveexec_b64 s[16:17], vcc
	s_xor_b64 s[72:73], exec, s[16:17]
	s_cbranch_execz .LBB0_1242
; %bb.1229:                             ;   in Loop: Header=BB0_900 Depth=2
	v_and_b32_e32 v36, 0x7fffffff, v18
	v_mov_b32_e32 v37, v3
	v_cmp_gt_u64_e32 vcc, s[58:59], v[36:37]
	v_and_b32_sdwa v0, v18, s48 dst_sel:DWORD dst_unused:UNUSED_PAD src0_sel:BYTE_3 src1_sel:DWORD
                                        ; implicit-def: $vgpr29
	s_and_saveexec_b64 s[16:17], vcc
	s_xor_b64 s[74:75], exec, s[16:17]
	s_cbranch_execz .LBB0_1239
; %bb.1230:                             ;   in Loop: Header=BB0_900 Depth=2
	v_mov_b32_e32 v29, 0
	v_cmp_ne_u32_e32 vcc, 0, v18
	s_and_saveexec_b64 s[76:77], vcc
	s_cbranch_execz .LBB0_1238
; %bb.1231:                             ;   in Loop: Header=BB0_900 Depth=2
	v_bfe_u32 v18, v18, 23, 8
	v_cmp_gt_u32_e64 s[16:17], s49, v18
	v_sub_u32_e32 v23, 0x71, v18
	v_cmp_eq_u32_e32 vcc, 0, v18
	v_cndmask_b32_e64 v23, 0, v23, s[16:17]
	v_or_b32_e32 v29, 0x800000, v27
	v_cndmask_b32_e32 v23, v23, v12, vcc
	v_cndmask_b32_e32 v27, v29, v27, vcc
	v_add_u32_e32 v29, 21, v23
	v_lshlrev_b64 v[36:37], v29, -1
	v_add_u32_e32 v29, 20, v23
	v_bfi_b32 v36, v36, 0, v27
	v_lshlrev_b64 v[38:39], v29, 1
	v_lshrrev_b64 v[27:28], v23, v[27:28]
	v_bfi_b32 v37, v37, 0, 0
	v_cmp_eq_u64_e64 s[16:17], v[36:37], v[38:39]
	v_mov_b32_e32 v29, v28
	v_mov_b32_e32 v28, v27
	s_and_saveexec_b64 s[78:79], s[16:17]
; %bb.1232:                             ;   in Loop: Header=BB0_900 Depth=2
	v_bfe_u32 v28, v27, 21, 1
	v_add_co_u32_e64 v28, s[16:17], v27, v28
	v_add_co_u32_e64 v28, s[16:17], -1, v28
; %bb.1233:                             ;   in Loop: Header=BB0_900 Depth=2
	s_or_b64 exec, exec, s[78:79]
	v_add_u32_e32 v18, 0xffffff81, v18
	v_cndmask_b32_e32 v18, v18, v48, vcc
	v_lshrrev_b32_e32 v29, 23, v27
	v_add3_u32 v29, v23, v18, v29
	v_add_u32_e32 v23, 14, v29
	v_and_b32_e32 v18, 0x1fffff, v28
	v_add_u32_e32 v27, v18, v27
	v_mov_b32_e32 v28, v3
	v_cmp_ne_u32_e32 vcc, 0, v23
                                        ; implicit-def: $vgpr18
	s_and_saveexec_b64 s[16:17], vcc
	s_xor_b64 s[16:17], exec, s[16:17]
; %bb.1234:                             ;   in Loop: Header=BB0_900 Depth=2
	v_cmp_lt_u64_e32 vcc, s[60:61], v[27:28]
	v_add_u32_e32 v18, 15, v29
	v_cndmask_b32_e32 v18, v23, v18, vcc
	v_cndmask_b32_e64 v23, 0, 1, vcc
	v_lshrrev_b64 v[27:28], v23, v[27:28]
; %bb.1235:                             ;   in Loop: Header=BB0_900 Depth=2
	s_andn2_saveexec_b64 s[16:17], s[16:17]
; %bb.1236:                             ;   in Loop: Header=BB0_900 Depth=2
	v_bfe_u32 v18, v27, 23, 1
; %bb.1237:                             ;   in Loop: Header=BB0_900 Depth=2
	s_or_b64 exec, exec, s[16:17]
	v_lshrrev_b64 v[27:28], 21, v[27:28]
	v_cmp_gt_i32_e32 vcc, 32, v18
	v_cndmask_b32_e32 v28, 0, v28, vcc
	v_cndmask_b32_e32 v27, 3, v27, vcc
	v_cmp_eq_u32_e32 vcc, 0, v18
	v_min_i32_e32 v18, 31, v18
	v_cmp_eq_u64_e64 s[16:17], 0, v[27:28]
	v_lshlrev_b32_e32 v18, 2, v18
	v_and_b32_e32 v18, 0xfc, v18
	v_and_or_b32 v18, v27, 3, v18
	s_and_b64 s[16:17], vcc, s[16:17]
	v_cndmask_b32_e64 v18, v18, 0, s[16:17]
	v_or_b32_e32 v29, v18, v0
.LBB0_1238:                             ;   in Loop: Header=BB0_900 Depth=2
	s_or_b64 exec, exec, s[76:77]
                                        ; implicit-def: $vgpr0
.LBB0_1239:                             ;   in Loop: Header=BB0_900 Depth=2
	s_andn2_saveexec_b64 s[16:17], s[74:75]
; %bb.1240:                             ;   in Loop: Header=BB0_900 Depth=2
	v_or_b32_e32 v29, 0x7b, v0
; %bb.1241:                             ;   in Loop: Header=BB0_900 Depth=2
	s_or_b64 exec, exec, s[16:17]
                                        ; implicit-def: $vgpr18
                                        ; implicit-def: $vgpr27_vgpr28
.LBB0_1242:                             ;   in Loop: Header=BB0_900 Depth=2
	s_andn2_saveexec_b64 s[16:17], s[72:73]
	s_cbranch_execz .LBB0_1248
; %bb.1243:                             ;   in Loop: Header=BB0_900 Depth=2
	v_cmp_ne_u64_e32 vcc, 0, v[27:28]
                                        ; implicit-def: $vgpr29
	s_and_saveexec_b64 s[72:73], vcc
	s_xor_b64 s[72:73], exec, s[72:73]
; %bb.1244:                             ;   in Loop: Header=BB0_900 Depth=2
	v_or_b32_sdwa v29, v18, s50 dst_sel:DWORD dst_unused:UNUSED_PAD src0_sel:BYTE_3 src1_sel:DWORD
                                        ; implicit-def: $vgpr18
; %bb.1245:                             ;   in Loop: Header=BB0_900 Depth=2
	s_andn2_saveexec_b64 s[72:73], s[72:73]
; %bb.1246:                             ;   in Loop: Header=BB0_900 Depth=2
	v_cmp_lt_i32_e32 vcc, -1, v18
	v_cndmask_b32_e32 v29, v49, v11, vcc
; %bb.1247:                             ;   in Loop: Header=BB0_900 Depth=2
	s_or_b64 exec, exec, s[72:73]
.LBB0_1248:                             ;   in Loop: Header=BB0_900 Depth=2
	s_or_b64 exec, exec, s[16:17]
	v_cmp_lt_u32_e32 vcc, s47, v17
	v_mov_b32_e32 v18, 0
	v_mov_b32_e32 v23, 0
	s_and_saveexec_b64 s[16:17], vcc
	s_cbranch_execz .LBB0_1256
; %bb.1249:                             ;   in Loop: Header=BB0_900 Depth=2
	v_lshrrev_b32_e32 v0, 24, v17
	v_cmp_ne_u32_e32 vcc, s48, v0
	v_bfrev_b32_e32 v23, 1
	s_and_saveexec_b64 s[72:73], vcc
	s_cbranch_execz .LBB0_1255
; %bb.1250:                             ;   in Loop: Header=BB0_900 Depth=2
	v_and_b32_e32 v23, 0x7c000000, v17
	v_bfe_u32 v27, v17, 24, 2
	v_cmp_ne_u32_e32 vcc, s52, v23
                                        ; implicit-def: $vgpr23
	s_and_saveexec_b64 s[74:75], vcc
	s_xor_b64 s[74:75], exec, s[74:75]
	s_cbranch_execz .LBB0_1252
; %bb.1251:                             ;   in Loop: Header=BB0_900 Depth=2
	v_ffbh_u32_e32 v28, v27
	v_min_u32_e32 v28, 32, v28
	v_subrev_u32_e32 v36, 29, v28
	v_bfe_u32 v23, v17, 26, 5
	v_lshlrev_b64 v[36:37], v36, v[0:1]
	v_sub_u32_e32 v0, 30, v28
	v_cmp_eq_u32_e32 vcc, 0, v23
	v_and_b32_e32 v28, 3, v36
	v_cndmask_b32_e32 v0, v23, v0, vcc
	v_and_b32_e32 v17, 0x80000000, v17
	v_cndmask_b32_e32 v23, v27, v28, vcc
	v_lshl_add_u32 v0, v0, 23, v17
	v_lshl_or_b32 v0, v23, 21, v0
	v_add_u32_e32 v23, 0x38000000, v0
                                        ; implicit-def: $vgpr27
.LBB0_1252:                             ;   in Loop: Header=BB0_900 Depth=2
	s_andn2_saveexec_b64 s[74:75], s[74:75]
; %bb.1253:                             ;   in Loop: Header=BB0_900 Depth=2
	v_cmp_lt_i32_e32 vcc, -1, v17
	v_cndmask_b32_e32 v0, v8, v54, vcc
	v_cmp_eq_u32_e32 vcc, 0, v27
	v_cndmask_b32_e32 v23, v55, v0, vcc
; %bb.1254:                             ;   in Loop: Header=BB0_900 Depth=2
	s_or_b64 exec, exec, s[74:75]
.LBB0_1255:                             ;   in Loop: Header=BB0_900 Depth=2
	s_or_b64 exec, exec, s[72:73]
.LBB0_1256:                             ;   in Loop: Header=BB0_900 Depth=2
	s_or_b64 exec, exec, s[16:17]
	v_cmp_lt_u32_e32 vcc, s47, v2
	s_and_saveexec_b64 s[16:17], vcc
	s_cbranch_execz .LBB0_1264
; %bb.1257:                             ;   in Loop: Header=BB0_900 Depth=2
	v_lshrrev_b32_e32 v0, 24, v2
	v_cmp_ne_u32_e32 vcc, s48, v0
	v_bfrev_b32_e32 v18, 1
	s_and_saveexec_b64 s[72:73], vcc
	s_cbranch_execz .LBB0_1263
; %bb.1258:                             ;   in Loop: Header=BB0_900 Depth=2
	v_and_b32_e32 v18, 0x7c000000, v2
	v_bfe_u32 v17, v2, 24, 2
	v_cmp_ne_u32_e32 vcc, s52, v18
                                        ; implicit-def: $vgpr18
	s_and_saveexec_b64 s[74:75], vcc
	s_xor_b64 s[74:75], exec, s[74:75]
	s_cbranch_execz .LBB0_1260
; %bb.1259:                             ;   in Loop: Header=BB0_900 Depth=2
	v_ffbh_u32_e32 v27, v17
	v_min_u32_e32 v36, 32, v27
	v_subrev_u32_e32 v27, 29, v36
	v_bfe_u32 v18, v2, 26, 5
	v_lshlrev_b64 v[27:28], v27, v[0:1]
	v_sub_u32_e32 v0, 30, v36
	v_cmp_eq_u32_e32 vcc, 0, v18
	v_and_b32_e32 v27, 3, v27
	v_cndmask_b32_e32 v0, v18, v0, vcc
	v_and_b32_e32 v2, 0x80000000, v2
	v_cndmask_b32_e32 v17, v17, v27, vcc
	v_lshl_add_u32 v0, v0, 23, v2
	v_lshl_or_b32 v0, v17, 21, v0
	v_add_u32_e32 v18, 0x38000000, v0
                                        ; implicit-def: $vgpr17
.LBB0_1260:                             ;   in Loop: Header=BB0_900 Depth=2
	s_andn2_saveexec_b64 s[74:75], s[74:75]
; %bb.1261:                             ;   in Loop: Header=BB0_900 Depth=2
	v_cmp_lt_i32_e32 vcc, -1, v2
	v_cndmask_b32_e32 v0, v8, v54, vcc
	v_cmp_eq_u32_e32 vcc, 0, v17
	v_cndmask_b32_e32 v18, v55, v0, vcc
; %bb.1262:                             ;   in Loop: Header=BB0_900 Depth=2
	s_or_b64 exec, exec, s[74:75]
.LBB0_1263:                             ;   in Loop: Header=BB0_900 Depth=2
	s_or_b64 exec, exec, s[72:73]
.LBB0_1264:                             ;   in Loop: Header=BB0_900 Depth=2
	s_or_b64 exec, exec, s[16:17]
	v_add_f32_e32 v17, v23, v18
	v_and_b32_e32 v27, 0x7f800000, v17
	v_mov_b32_e32 v28, v3
	v_cmp_ne_u64_e32 vcc, s[56:57], v[27:28]
	v_and_b32_e32 v2, 0x7fffff, v17
                                        ; implicit-def: $vgpr23
	s_and_saveexec_b64 s[16:17], vcc
	s_xor_b64 s[72:73], exec, s[16:17]
	s_cbranch_execz .LBB0_1278
; %bb.1265:                             ;   in Loop: Header=BB0_900 Depth=2
	v_and_b32_e32 v27, 0x7fffffff, v17
	v_mov_b32_e32 v28, v3
	v_cmp_gt_u64_e32 vcc, s[58:59], v[27:28]
	v_and_b32_sdwa v0, v17, s48 dst_sel:DWORD dst_unused:UNUSED_PAD src0_sel:BYTE_3 src1_sel:DWORD
                                        ; implicit-def: $vgpr23
	s_and_saveexec_b64 s[16:17], vcc
	s_xor_b64 s[74:75], exec, s[16:17]
	s_cbranch_execz .LBB0_1275
; %bb.1266:                             ;   in Loop: Header=BB0_900 Depth=2
	v_mov_b32_e32 v23, 0
	v_cmp_ne_u32_e32 vcc, 0, v17
	s_and_saveexec_b64 s[76:77], vcc
	s_cbranch_execz .LBB0_1274
; %bb.1267:                             ;   in Loop: Header=BB0_900 Depth=2
	v_bfe_u32 v23, v17, 23, 8
	v_cmp_gt_u32_e64 s[16:17], s49, v23
	v_sub_u32_e32 v17, 0x71, v23
	v_cmp_eq_u32_e32 vcc, 0, v23
	v_cndmask_b32_e64 v17, 0, v17, s[16:17]
	v_cndmask_b32_e32 v36, v17, v12, vcc
	v_or_b32_e32 v18, 0x800000, v2
	v_add_u32_e32 v17, 21, v36
	v_cndmask_b32_e32 v2, v18, v2, vcc
	v_lshlrev_b64 v[17:18], v17, -1
	v_add_u32_e32 v27, 20, v36
	v_lshlrev_b64 v[27:28], v27, 1
	v_bfi_b32 v18, v18, 0, 0
	v_bfi_b32 v17, v17, 0, v2
	v_cmp_eq_u64_e64 s[16:17], v[17:18], v[27:28]
	v_lshrrev_b64 v[17:18], v36, v[2:3]
	v_mov_b32_e32 v28, v18
	v_mov_b32_e32 v27, v17
	s_and_saveexec_b64 s[78:79], s[16:17]
; %bb.1268:                             ;   in Loop: Header=BB0_900 Depth=2
	v_bfe_u32 v2, v17, 21, 1
	v_add_co_u32_e64 v2, s[16:17], v17, v2
	v_add_co_u32_e64 v27, s[16:17], -1, v2
; %bb.1269:                             ;   in Loop: Header=BB0_900 Depth=2
	s_or_b64 exec, exec, s[78:79]
	v_add_u32_e32 v2, 0xffffff81, v23
	v_cndmask_b32_e32 v2, v2, v48, vcc
	v_lshrrev_b32_e32 v18, 23, v17
	v_add3_u32 v36, v36, v2, v18
	v_add_u32_e32 v28, 14, v36
	v_and_b32_e32 v2, 0x1fffff, v27
	v_add_u32_e32 v2, v2, v17
	v_cmp_ne_u32_e32 vcc, 0, v28
                                        ; implicit-def: $vgpr17_vgpr18
                                        ; implicit-def: $vgpr23
	s_and_saveexec_b64 s[16:17], vcc
	s_xor_b64 s[16:17], exec, s[16:17]
; %bb.1270:                             ;   in Loop: Header=BB0_900 Depth=2
	v_cmp_lt_u64_e32 vcc, s[60:61], v[2:3]
	v_add_u32_e32 v17, 15, v36
	v_cndmask_b32_e32 v23, v28, v17, vcc
	v_cndmask_b32_e64 v17, 0, 1, vcc
	v_lshrrev_b64 v[17:18], v17, v[2:3]
; %bb.1271:                             ;   in Loop: Header=BB0_900 Depth=2
	s_andn2_saveexec_b64 s[16:17], s[16:17]
; %bb.1272:                             ;   in Loop: Header=BB0_900 Depth=2
	v_mov_b32_e32 v18, v3
	v_bfe_u32 v23, v2, 23, 1
	v_mov_b32_e32 v17, v2
; %bb.1273:                             ;   in Loop: Header=BB0_900 Depth=2
	s_or_b64 exec, exec, s[16:17]
	v_lshrrev_b64 v[17:18], 21, v[17:18]
	v_cmp_gt_i32_e32 vcc, 32, v23
	v_cndmask_b32_e32 v18, 0, v18, vcc
	v_cndmask_b32_e32 v17, 3, v17, vcc
	v_min_i32_e32 v2, 31, v23
	v_cmp_eq_u64_e64 s[16:17], 0, v[17:18]
	v_lshlrev_b32_e32 v2, 2, v2
	v_cmp_eq_u32_e32 vcc, 0, v23
	v_and_b32_e32 v2, 0xfc, v2
	v_and_or_b32 v2, v17, 3, v2
	s_and_b64 s[16:17], vcc, s[16:17]
	v_cndmask_b32_e64 v2, v2, 0, s[16:17]
	v_or_b32_e32 v23, v2, v0
.LBB0_1274:                             ;   in Loop: Header=BB0_900 Depth=2
	s_or_b64 exec, exec, s[76:77]
                                        ; implicit-def: $vgpr0
.LBB0_1275:                             ;   in Loop: Header=BB0_900 Depth=2
	s_andn2_saveexec_b64 s[16:17], s[74:75]
; %bb.1276:                             ;   in Loop: Header=BB0_900 Depth=2
	v_or_b32_e32 v23, 0x7b, v0
; %bb.1277:                             ;   in Loop: Header=BB0_900 Depth=2
	s_or_b64 exec, exec, s[16:17]
                                        ; implicit-def: $vgpr17
.LBB0_1278:                             ;   in Loop: Header=BB0_900 Depth=2
	s_andn2_saveexec_b64 s[16:17], s[72:73]
	s_cbranch_execz .LBB0_1284
; %bb.1279:                             ;   in Loop: Header=BB0_900 Depth=2
	v_cmp_ne_u64_e32 vcc, 0, v[2:3]
                                        ; implicit-def: $vgpr23
	s_and_saveexec_b64 s[72:73], vcc
	s_xor_b64 s[72:73], exec, s[72:73]
; %bb.1280:                             ;   in Loop: Header=BB0_900 Depth=2
	v_or_b32_sdwa v23, v17, s50 dst_sel:DWORD dst_unused:UNUSED_PAD src0_sel:BYTE_3 src1_sel:DWORD
                                        ; implicit-def: $vgpr17
; %bb.1281:                             ;   in Loop: Header=BB0_900 Depth=2
	s_andn2_saveexec_b64 s[72:73], s[72:73]
; %bb.1282:                             ;   in Loop: Header=BB0_900 Depth=2
	v_cmp_lt_i32_e32 vcc, -1, v17
	v_cndmask_b32_e32 v23, v49, v11, vcc
; %bb.1283:                             ;   in Loop: Header=BB0_900 Depth=2
	s_or_b64 exec, exec, s[72:73]
.LBB0_1284:                             ;   in Loop: Header=BB0_900 Depth=2
	s_or_b64 exec, exec, s[16:17]
	v_cmp_ne_u16_sdwa s[72:73], v19, v3 src0_sel:BYTE_0 src1_sel:DWORD
	v_mov_b32_e32 v18, 0
	v_mov_b32_e32 v17, 0
	s_and_saveexec_b64 s[16:17], s[72:73]
	s_cbranch_execz .LBB0_1292
; %bb.1285:                             ;   in Loop: Header=BB0_900 Depth=2
	v_cmp_ne_u16_sdwa s[74:75], sext(v19), s38 src0_sel:BYTE_0 src1_sel:DWORD
	v_bfrev_b32_e32 v17, 1
	s_and_saveexec_b64 s[72:73], s[74:75]
	s_cbranch_execz .LBB0_1291
; %bb.1286:                             ;   in Loop: Header=BB0_900 Depth=2
	v_and_b32_e32 v2, 0x7c, v19
	v_and_b32_e32 v0, 3, v19
	v_cmp_ne_u32_e32 vcc, s39, v2
                                        ; implicit-def: $vgpr17
	s_and_saveexec_b64 s[74:75], vcc
	s_xor_b64 s[74:75], exec, s[74:75]
	s_cbranch_execz .LBB0_1288
; %bb.1287:                             ;   in Loop: Header=BB0_900 Depth=2
	v_ffbh_u32_e32 v17, v0
	v_min_u32_e32 v17, 32, v17
	v_bfe_u32 v2, v19, 2, 5
	v_subrev_u32_e32 v27, 29, v17
	v_lshlrev_b64 v[27:28], v27, v[19:20]
	v_sub_u32_e32 v17, 30, v17
	v_cmp_eq_u32_e32 vcc, 0, v2
	v_cndmask_b32_e32 v2, v2, v17, vcc
	v_lshlrev_b32_e32 v17, 24, v19
	v_and_b32_e32 v20, 3, v27
	v_and_b32_e32 v17, 0x80000000, v17
	v_cndmask_b32_e32 v0, v0, v20, vcc
	v_lshl_add_u32 v2, v2, 23, v17
	v_lshl_or_b32 v0, v0, 21, v2
	v_add_u32_e32 v17, 0x38000000, v0
                                        ; implicit-def: $vgpr0
.LBB0_1288:                             ;   in Loop: Header=BB0_900 Depth=2
	s_andn2_saveexec_b64 s[74:75], s[74:75]
; %bb.1289:                             ;   in Loop: Header=BB0_900 Depth=2
	v_cmp_gt_i16_sdwa vcc, sext(v19), v7 src0_sel:BYTE_0 src1_sel:DWORD
	v_cndmask_b32_e32 v2, v8, v54, vcc
	v_cmp_eq_u32_e32 vcc, 0, v0
	v_cndmask_b32_e32 v17, v55, v2, vcc
; %bb.1290:                             ;   in Loop: Header=BB0_900 Depth=2
	s_or_b64 exec, exec, s[74:75]
.LBB0_1291:                             ;   in Loop: Header=BB0_900 Depth=2
	s_or_b64 exec, exec, s[72:73]
.LBB0_1292:                             ;   in Loop: Header=BB0_900 Depth=2
	s_or_b64 exec, exec, s[16:17]
	v_lshlrev_b32_e32 v2, 24, v24
	v_lshlrev_b32_e32 v20, 16, v33
	v_lshl_or_b32 v0, v32, 8, v30
	v_or3_b32 v2, v20, v2, v0
	v_cmp_ne_u32_e32 vcc, 0, v30
	s_and_saveexec_b64 s[72:73], vcc
	s_cbranch_execz .LBB0_1300
; %bb.1293:                             ;   in Loop: Header=BB0_900 Depth=2
	v_cmp_ne_u32_e32 vcc, s48, v30
	v_bfrev_b32_e32 v18, 1
	s_and_saveexec_b64 s[74:75], vcc
	s_cbranch_execz .LBB0_1299
; %bb.1294:                             ;   in Loop: Header=BB0_900 Depth=2
	v_and_b32_e32 v18, 0x7c, v30
	v_and_b32_e32 v20, 3, v30
	v_cmp_ne_u32_e32 vcc, s39, v18
                                        ; implicit-def: $vgpr18
	s_and_saveexec_b64 s[16:17], vcc
	s_xor_b64 s[16:17], exec, s[16:17]
	s_cbranch_execz .LBB0_1296
; %bb.1295:                             ;   in Loop: Header=BB0_900 Depth=2
	v_ffbh_u32_e32 v24, v20
	v_min_u32_e32 v24, 32, v24
	v_bfe_u32 v18, v30, 2, 5
	v_subrev_u32_e32 v27, 29, v24
	v_lshlrev_b64 v[27:28], v27, v[2:3]
	v_sub_u32_e32 v24, 30, v24
	v_cmp_eq_u32_e32 vcc, 0, v18
	v_cndmask_b32_e32 v18, v18, v24, vcc
	v_lshlrev_b32_e32 v24, 24, v30
	v_and_b32_e32 v27, 3, v27
	v_and_b32_e32 v24, 0x80000000, v24
	v_cndmask_b32_e32 v20, v20, v27, vcc
	v_lshl_add_u32 v18, v18, 23, v24
	v_lshl_or_b32 v18, v20, 21, v18
	v_add_u32_e32 v18, 0x38000000, v18
                                        ; implicit-def: $vgpr20
                                        ; implicit-def: $vgpr30
.LBB0_1296:                             ;   in Loop: Header=BB0_900 Depth=2
	s_andn2_saveexec_b64 s[76:77], s[16:17]
; %bb.1297:                             ;   in Loop: Header=BB0_900 Depth=2
	v_and_b32_e32 v18, 0x80, v30
	v_cmp_eq_u32_e64 s[16:17], 0, v18
	v_cmp_eq_u32_e32 vcc, 0, v20
	v_cndmask_b32_e64 v18, v8, v54, s[16:17]
	v_cndmask_b32_e32 v18, v55, v18, vcc
; %bb.1298:                             ;   in Loop: Header=BB0_900 Depth=2
	s_or_b64 exec, exec, s[76:77]
.LBB0_1299:                             ;   in Loop: Header=BB0_900 Depth=2
	s_or_b64 exec, exec, s[74:75]
.LBB0_1300:                             ;   in Loop: Header=BB0_900 Depth=2
	s_or_b64 exec, exec, s[72:73]
	v_add_f32_e32 v27, v17, v18
	v_and_b32_e32 v32, 0x7f800000, v27
	v_mov_b32_e32 v33, v3
	v_cmp_ne_u64_e32 vcc, s[56:57], v[32:33]
	v_and_b32_e32 v17, 0x7fffff, v27
	v_mov_b32_e32 v18, v3
                                        ; implicit-def: $vgpr20
	s_and_saveexec_b64 s[16:17], vcc
	s_xor_b64 s[72:73], exec, s[16:17]
	s_cbranch_execz .LBB0_1314
; %bb.1301:                             ;   in Loop: Header=BB0_900 Depth=2
	v_and_b32_e32 v32, 0x7fffffff, v27
	v_mov_b32_e32 v33, v3
	v_cmp_gt_u64_e32 vcc, s[58:59], v[32:33]
	v_and_b32_sdwa v24, v27, s48 dst_sel:DWORD dst_unused:UNUSED_PAD src0_sel:BYTE_3 src1_sel:DWORD
                                        ; implicit-def: $vgpr20
	s_and_saveexec_b64 s[16:17], vcc
	s_xor_b64 s[74:75], exec, s[16:17]
	s_cbranch_execz .LBB0_1311
; %bb.1302:                             ;   in Loop: Header=BB0_900 Depth=2
	v_mov_b32_e32 v20, 0
	v_cmp_ne_u32_e32 vcc, 0, v27
	s_and_saveexec_b64 s[76:77], vcc
	s_cbranch_execz .LBB0_1310
; %bb.1303:                             ;   in Loop: Header=BB0_900 Depth=2
	v_bfe_u32 v20, v27, 23, 8
	v_cmp_gt_u32_e64 s[16:17], s49, v20
	v_sub_u32_e32 v27, 0x71, v20
	v_cmp_eq_u32_e32 vcc, 0, v20
	v_cndmask_b32_e64 v27, 0, v27, s[16:17]
	v_cndmask_b32_e32 v30, v27, v12, vcc
	v_or_b32_e32 v28, 0x800000, v17
	v_add_u32_e32 v27, 21, v30
	v_cndmask_b32_e32 v17, v28, v17, vcc
	v_lshlrev_b64 v[27:28], v27, -1
	v_add_u32_e32 v32, 20, v30
	v_bfi_b32 v27, v27, 0, v17
	v_lshlrev_b64 v[32:33], v32, 1
	v_lshrrev_b64 v[17:18], v30, v[17:18]
	v_bfi_b32 v28, v28, 0, 0
	v_cmp_eq_u64_e64 s[16:17], v[27:28], v[32:33]
	v_mov_b32_e32 v28, v18
	v_mov_b32_e32 v27, v17
	s_and_saveexec_b64 s[78:79], s[16:17]
; %bb.1304:                             ;   in Loop: Header=BB0_900 Depth=2
	v_bfe_u32 v18, v17, 21, 1
	v_add_co_u32_e64 v18, s[16:17], v17, v18
	v_add_co_u32_e64 v27, s[16:17], -1, v18
; %bb.1305:                             ;   in Loop: Header=BB0_900 Depth=2
	s_or_b64 exec, exec, s[78:79]
	v_add_u32_e32 v18, 0xffffff81, v20
	v_cndmask_b32_e32 v18, v18, v48, vcc
	v_lshrrev_b32_e32 v20, 23, v17
	v_add3_u32 v30, v30, v18, v20
	v_add_u32_e32 v28, 14, v30
	v_and_b32_e32 v18, 0x1fffff, v27
	v_add_u32_e32 v17, v18, v17
	v_mov_b32_e32 v18, v3
	v_cmp_ne_u32_e32 vcc, 0, v28
                                        ; implicit-def: $vgpr20
	s_and_saveexec_b64 s[16:17], vcc
	s_xor_b64 s[16:17], exec, s[16:17]
; %bb.1306:                             ;   in Loop: Header=BB0_900 Depth=2
	v_cmp_lt_u64_e32 vcc, s[60:61], v[17:18]
	v_add_u32_e32 v20, 15, v30
	v_cndmask_b32_e64 v27, 0, 1, vcc
	v_cndmask_b32_e32 v20, v28, v20, vcc
	v_lshrrev_b64 v[17:18], v27, v[17:18]
; %bb.1307:                             ;   in Loop: Header=BB0_900 Depth=2
	s_andn2_saveexec_b64 s[16:17], s[16:17]
; %bb.1308:                             ;   in Loop: Header=BB0_900 Depth=2
	v_bfe_u32 v20, v17, 23, 1
; %bb.1309:                             ;   in Loop: Header=BB0_900 Depth=2
	s_or_b64 exec, exec, s[16:17]
	v_lshrrev_b64 v[17:18], 21, v[17:18]
	v_cmp_gt_i32_e32 vcc, 32, v20
	v_cndmask_b32_e32 v18, 0, v18, vcc
	v_cndmask_b32_e32 v17, 3, v17, vcc
	v_cmp_eq_u64_e64 s[16:17], 0, v[17:18]
	v_min_i32_e32 v18, 31, v20
	v_lshlrev_b32_e32 v18, 2, v18
	v_cmp_eq_u32_e32 vcc, 0, v20
	v_and_b32_e32 v18, 0xfc, v18
	v_and_or_b32 v17, v17, 3, v18
	s_and_b64 s[16:17], vcc, s[16:17]
	v_cndmask_b32_e64 v17, v17, 0, s[16:17]
	v_or_b32_e32 v20, v17, v24
.LBB0_1310:                             ;   in Loop: Header=BB0_900 Depth=2
	s_or_b64 exec, exec, s[76:77]
                                        ; implicit-def: $vgpr24
.LBB0_1311:                             ;   in Loop: Header=BB0_900 Depth=2
	s_andn2_saveexec_b64 s[16:17], s[74:75]
; %bb.1312:                             ;   in Loop: Header=BB0_900 Depth=2
	v_or_b32_e32 v20, 0x7b, v24
; %bb.1313:                             ;   in Loop: Header=BB0_900 Depth=2
	s_or_b64 exec, exec, s[16:17]
                                        ; implicit-def: $vgpr27
                                        ; implicit-def: $vgpr17_vgpr18
.LBB0_1314:                             ;   in Loop: Header=BB0_900 Depth=2
	s_andn2_saveexec_b64 s[16:17], s[72:73]
	s_cbranch_execz .LBB0_1320
; %bb.1315:                             ;   in Loop: Header=BB0_900 Depth=2
	v_cmp_ne_u64_e32 vcc, 0, v[17:18]
                                        ; implicit-def: $vgpr20
	s_and_saveexec_b64 s[72:73], vcc
	s_xor_b64 s[72:73], exec, s[72:73]
; %bb.1316:                             ;   in Loop: Header=BB0_900 Depth=2
	v_or_b32_sdwa v20, v27, s50 dst_sel:DWORD dst_unused:UNUSED_PAD src0_sel:BYTE_3 src1_sel:DWORD
                                        ; implicit-def: $vgpr27
; %bb.1317:                             ;   in Loop: Header=BB0_900 Depth=2
	s_andn2_saveexec_b64 s[72:73], s[72:73]
; %bb.1318:                             ;   in Loop: Header=BB0_900 Depth=2
	v_cmp_lt_i32_e32 vcc, -1, v27
	v_cndmask_b32_e32 v20, v49, v11, vcc
; %bb.1319:                             ;   in Loop: Header=BB0_900 Depth=2
	s_or_b64 exec, exec, s[72:73]
.LBB0_1320:                             ;   in Loop: Header=BB0_900 Depth=2
	s_or_b64 exec, exec, s[16:17]
	v_lshrrev_b16_e32 v17, 8, v19
	v_cmp_ne_u16_e32 vcc, 0, v17
	v_mov_b32_e32 v24, 0
	v_mov_b32_e32 v27, 0
	s_and_saveexec_b64 s[16:17], vcc
	s_cbranch_execz .LBB0_1328
; %bb.1321:                             ;   in Loop: Header=BB0_900 Depth=2
	v_cmp_ne_u16_e32 vcc, s48, v17
	v_bfrev_b32_e32 v27, 1
	s_and_saveexec_b64 s[72:73], vcc
	s_cbranch_execz .LBB0_1327
; %bb.1322:                             ;   in Loop: Header=BB0_900 Depth=2
	v_and_b32_e32 v18, 0x7c, v17
	v_and_b32_e32 v28, 3, v17
	v_cmp_ne_u32_e32 vcc, s39, v18
                                        ; implicit-def: $vgpr27
	s_and_saveexec_b64 s[74:75], vcc
	s_xor_b64 s[74:75], exec, s[74:75]
	s_cbranch_execz .LBB0_1324
; %bb.1323:                             ;   in Loop: Header=BB0_900 Depth=2
	v_ffbh_u32_e32 v30, v28
	v_min_u32_e32 v30, 32, v30
	v_mov_b32_e32 v18, v3
	v_subrev_u32_e32 v32, 29, v30
	v_bfe_u32 v27, v17, 2, 5
	v_lshlrev_b64 v[17:18], v32, v[17:18]
	v_sub_u32_e32 v18, 30, v30
	v_cmp_eq_u32_e32 vcc, 0, v27
	v_cndmask_b32_e32 v18, v27, v18, vcc
	v_lshlrev_b32_e32 v27, 16, v19
	v_and_b32_e32 v17, 3, v17
	v_and_b32_e32 v27, 0x80000000, v27
	v_cndmask_b32_e32 v17, v28, v17, vcc
	v_lshl_add_u32 v18, v18, 23, v27
	v_lshl_or_b32 v17, v17, 21, v18
	v_add_u32_e32 v27, 0x38000000, v17
                                        ; implicit-def: $vgpr28
.LBB0_1324:                             ;   in Loop: Header=BB0_900 Depth=2
	s_andn2_saveexec_b64 s[74:75], s[74:75]
; %bb.1325:                             ;   in Loop: Header=BB0_900 Depth=2
	v_cmp_lt_i16_e32 vcc, -1, v19
	v_cndmask_b32_e32 v17, v8, v54, vcc
	v_cmp_eq_u32_e32 vcc, 0, v28
	v_cndmask_b32_e32 v27, v55, v17, vcc
; %bb.1326:                             ;   in Loop: Header=BB0_900 Depth=2
	s_or_b64 exec, exec, s[74:75]
.LBB0_1327:                             ;   in Loop: Header=BB0_900 Depth=2
	s_or_b64 exec, exec, s[72:73]
.LBB0_1328:                             ;   in Loop: Header=BB0_900 Depth=2
	s_or_b64 exec, exec, s[16:17]
	v_lshrrev_b16_e32 v17, 8, v0
	v_cmp_ne_u16_e32 vcc, 0, v17
	s_and_saveexec_b64 s[16:17], vcc
	s_cbranch_execz .LBB0_1336
; %bb.1329:                             ;   in Loop: Header=BB0_900 Depth=2
	v_cmp_ne_u16_e32 vcc, s48, v17
	v_bfrev_b32_e32 v24, 1
	s_and_saveexec_b64 s[72:73], vcc
	s_cbranch_execz .LBB0_1335
; %bb.1330:                             ;   in Loop: Header=BB0_900 Depth=2
	v_and_b32_e32 v18, 0x7c, v17
	v_and_b32_e32 v28, 3, v17
	v_cmp_ne_u32_e32 vcc, s39, v18
                                        ; implicit-def: $vgpr24
	s_and_saveexec_b64 s[74:75], vcc
	s_xor_b64 s[74:75], exec, s[74:75]
	s_cbranch_execz .LBB0_1332
; %bb.1331:                             ;   in Loop: Header=BB0_900 Depth=2
	v_ffbh_u32_e32 v30, v28
	v_min_u32_e32 v30, 32, v30
	v_mov_b32_e32 v18, v3
	v_subrev_u32_e32 v32, 29, v30
	v_bfe_u32 v24, v17, 2, 5
	v_lshlrev_b64 v[17:18], v32, v[17:18]
	v_sub_u32_e32 v18, 30, v30
	v_cmp_eq_u32_e32 vcc, 0, v24
	v_lshlrev_b32_e32 v0, 16, v0
	v_and_b32_e32 v17, 3, v17
	v_cndmask_b32_e32 v18, v24, v18, vcc
	v_and_b32_e32 v0, 0x80000000, v0
	v_cndmask_b32_e32 v17, v28, v17, vcc
	v_lshl_add_u32 v0, v18, 23, v0
	v_lshl_or_b32 v0, v17, 21, v0
	v_add_u32_e32 v24, 0x38000000, v0
                                        ; implicit-def: $vgpr28
                                        ; implicit-def: $vgpr0
.LBB0_1332:                             ;   in Loop: Header=BB0_900 Depth=2
	s_andn2_saveexec_b64 s[74:75], s[74:75]
; %bb.1333:                             ;   in Loop: Header=BB0_900 Depth=2
	v_cmp_lt_i16_e32 vcc, -1, v0
	v_cndmask_b32_e32 v0, v8, v54, vcc
	v_cmp_eq_u32_e32 vcc, 0, v28
	v_cndmask_b32_e32 v24, v55, v0, vcc
; %bb.1334:                             ;   in Loop: Header=BB0_900 Depth=2
	s_or_b64 exec, exec, s[74:75]
.LBB0_1335:                             ;   in Loop: Header=BB0_900 Depth=2
	s_or_b64 exec, exec, s[72:73]
.LBB0_1336:                             ;   in Loop: Header=BB0_900 Depth=2
	s_or_b64 exec, exec, s[16:17]
	v_add_f32_e32 v27, v27, v24
	v_and_b32_e32 v32, 0x7f800000, v27
	v_mov_b32_e32 v33, v3
	v_cmp_ne_u64_e32 vcc, s[56:57], v[32:33]
	v_and_b32_e32 v17, 0x7fffff, v27
	v_mov_b32_e32 v18, v3
                                        ; implicit-def: $vgpr24
	s_and_saveexec_b64 s[16:17], vcc
	s_xor_b64 s[72:73], exec, s[16:17]
	s_cbranch_execz .LBB0_1350
; %bb.1337:                             ;   in Loop: Header=BB0_900 Depth=2
	v_and_b32_e32 v32, 0x7fffffff, v27
	v_mov_b32_e32 v33, v3
	v_cmp_gt_u64_e32 vcc, s[58:59], v[32:33]
	v_and_b32_sdwa v0, v27, s48 dst_sel:DWORD dst_unused:UNUSED_PAD src0_sel:BYTE_3 src1_sel:DWORD
                                        ; implicit-def: $vgpr24
	s_and_saveexec_b64 s[16:17], vcc
	s_xor_b64 s[74:75], exec, s[16:17]
	s_cbranch_execz .LBB0_1347
; %bb.1338:                             ;   in Loop: Header=BB0_900 Depth=2
	v_mov_b32_e32 v24, 0
	v_cmp_ne_u32_e32 vcc, 0, v27
	s_and_saveexec_b64 s[76:77], vcc
	s_cbranch_execz .LBB0_1346
; %bb.1339:                             ;   in Loop: Header=BB0_900 Depth=2
	v_bfe_u32 v24, v27, 23, 8
	v_cmp_gt_u32_e64 s[16:17], s49, v24
	v_sub_u32_e32 v27, 0x71, v24
	v_cmp_eq_u32_e32 vcc, 0, v24
	v_cndmask_b32_e64 v27, 0, v27, s[16:17]
	v_cndmask_b32_e32 v30, v27, v12, vcc
	v_or_b32_e32 v28, 0x800000, v17
	v_add_u32_e32 v27, 21, v30
	v_cndmask_b32_e32 v17, v28, v17, vcc
	v_lshlrev_b64 v[27:28], v27, -1
	v_add_u32_e32 v32, 20, v30
	v_bfi_b32 v27, v27, 0, v17
	v_lshlrev_b64 v[32:33], v32, 1
	v_lshrrev_b64 v[17:18], v30, v[17:18]
	v_bfi_b32 v28, v28, 0, 0
	v_cmp_eq_u64_e64 s[16:17], v[27:28], v[32:33]
	v_mov_b32_e32 v28, v18
	v_mov_b32_e32 v27, v17
	s_and_saveexec_b64 s[78:79], s[16:17]
; %bb.1340:                             ;   in Loop: Header=BB0_900 Depth=2
	v_bfe_u32 v18, v17, 21, 1
	v_add_co_u32_e64 v18, s[16:17], v17, v18
	v_add_co_u32_e64 v27, s[16:17], -1, v18
; %bb.1341:                             ;   in Loop: Header=BB0_900 Depth=2
	s_or_b64 exec, exec, s[78:79]
	v_add_u32_e32 v18, 0xffffff81, v24
	v_cndmask_b32_e32 v18, v18, v48, vcc
	v_lshrrev_b32_e32 v24, 23, v17
	v_add3_u32 v30, v30, v18, v24
	v_add_u32_e32 v28, 14, v30
	v_and_b32_e32 v18, 0x1fffff, v27
	v_add_u32_e32 v17, v18, v17
	v_mov_b32_e32 v18, v3
	v_cmp_ne_u32_e32 vcc, 0, v28
                                        ; implicit-def: $vgpr24
	s_and_saveexec_b64 s[16:17], vcc
	s_xor_b64 s[16:17], exec, s[16:17]
; %bb.1342:                             ;   in Loop: Header=BB0_900 Depth=2
	v_cmp_lt_u64_e32 vcc, s[60:61], v[17:18]
	v_add_u32_e32 v24, 15, v30
	v_cndmask_b32_e64 v27, 0, 1, vcc
	v_cndmask_b32_e32 v24, v28, v24, vcc
	v_lshrrev_b64 v[17:18], v27, v[17:18]
; %bb.1343:                             ;   in Loop: Header=BB0_900 Depth=2
	s_andn2_saveexec_b64 s[16:17], s[16:17]
; %bb.1344:                             ;   in Loop: Header=BB0_900 Depth=2
	v_bfe_u32 v24, v17, 23, 1
; %bb.1345:                             ;   in Loop: Header=BB0_900 Depth=2
	s_or_b64 exec, exec, s[16:17]
	v_lshrrev_b64 v[17:18], 21, v[17:18]
	v_cmp_gt_i32_e32 vcc, 32, v24
	v_cndmask_b32_e32 v18, 0, v18, vcc
	v_cndmask_b32_e32 v17, 3, v17, vcc
	v_cmp_eq_u64_e64 s[16:17], 0, v[17:18]
	v_min_i32_e32 v18, 31, v24
	v_lshlrev_b32_e32 v18, 2, v18
	v_cmp_eq_u32_e32 vcc, 0, v24
	v_and_b32_e32 v18, 0xfc, v18
	v_and_or_b32 v17, v17, 3, v18
	s_and_b64 s[16:17], vcc, s[16:17]
	v_cndmask_b32_e64 v17, v17, 0, s[16:17]
	v_or_b32_e32 v24, v17, v0
.LBB0_1346:                             ;   in Loop: Header=BB0_900 Depth=2
	s_or_b64 exec, exec, s[76:77]
                                        ; implicit-def: $vgpr0
.LBB0_1347:                             ;   in Loop: Header=BB0_900 Depth=2
	s_andn2_saveexec_b64 s[16:17], s[74:75]
; %bb.1348:                             ;   in Loop: Header=BB0_900 Depth=2
	v_or_b32_e32 v24, 0x7b, v0
; %bb.1349:                             ;   in Loop: Header=BB0_900 Depth=2
	s_or_b64 exec, exec, s[16:17]
                                        ; implicit-def: $vgpr27
                                        ; implicit-def: $vgpr17_vgpr18
.LBB0_1350:                             ;   in Loop: Header=BB0_900 Depth=2
	s_andn2_saveexec_b64 s[16:17], s[72:73]
	s_cbranch_execz .LBB0_1356
; %bb.1351:                             ;   in Loop: Header=BB0_900 Depth=2
	v_cmp_ne_u64_e32 vcc, 0, v[17:18]
                                        ; implicit-def: $vgpr24
	s_and_saveexec_b64 s[72:73], vcc
	s_xor_b64 s[72:73], exec, s[72:73]
; %bb.1352:                             ;   in Loop: Header=BB0_900 Depth=2
	v_or_b32_sdwa v24, v27, s50 dst_sel:DWORD dst_unused:UNUSED_PAD src0_sel:BYTE_3 src1_sel:DWORD
                                        ; implicit-def: $vgpr27
; %bb.1353:                             ;   in Loop: Header=BB0_900 Depth=2
	s_andn2_saveexec_b64 s[72:73], s[72:73]
; %bb.1354:                             ;   in Loop: Header=BB0_900 Depth=2
	v_cmp_lt_i32_e32 vcc, -1, v27
	v_cndmask_b32_e32 v24, v49, v11, vcc
; %bb.1355:                             ;   in Loop: Header=BB0_900 Depth=2
	s_or_b64 exec, exec, s[72:73]
.LBB0_1356:                             ;   in Loop: Header=BB0_900 Depth=2
	s_or_b64 exec, exec, s[16:17]
	v_lshrrev_b32_e32 v0, 16, v19
	v_cmp_ne_u16_sdwa s[72:73], v0, v3 src0_sel:BYTE_0 src1_sel:DWORD
	v_mov_b32_e32 v17, 0
	v_mov_b32_e32 v18, 0
	s_and_saveexec_b64 s[16:17], s[72:73]
	s_cbranch_execz .LBB0_1364
; %bb.1357:                             ;   in Loop: Header=BB0_900 Depth=2
	v_cmp_ne_u16_sdwa s[74:75], v0, s48 src0_sel:BYTE_0 src1_sel:DWORD
	v_bfrev_b32_e32 v18, 1
	s_and_saveexec_b64 s[72:73], s[74:75]
	s_cbranch_execz .LBB0_1363
; %bb.1358:                             ;   in Loop: Header=BB0_900 Depth=2
	v_and_b32_e32 v18, 0x7c0000, v19
	v_bfe_u32 v27, v19, 16, 2
	v_cmp_ne_u32_e32 vcc, s51, v18
                                        ; implicit-def: $vgpr18
	s_and_saveexec_b64 s[74:75], vcc
	s_xor_b64 s[74:75], exec, s[74:75]
	s_cbranch_execz .LBB0_1360
; %bb.1359:                             ;   in Loop: Header=BB0_900 Depth=2
	v_ffbh_u32_e32 v28, v27
	v_min_u32_e32 v28, 32, v28
	v_subrev_u32_e32 v30, 29, v28
	v_lshlrev_b64 v[32:33], v30, v[0:1]
	v_bfe_u32 v18, v19, 18, 5
	v_sub_u32_e32 v0, 30, v28
	v_and_b32_e32 v28, 3, v32
	v_cmp_eq_u32_e32 vcc, 0, v18
	v_cndmask_b32_e32 v0, v18, v0, vcc
	v_cndmask_b32_e32 v18, v27, v28, vcc
	v_lshlrev_b32_e32 v27, 8, v19
	v_and_b32_e32 v27, 0x80000000, v27
	v_lshl_add_u32 v0, v0, 23, v27
	v_lshl_or_b32 v0, v18, 21, v0
	v_add_u32_e32 v18, 0x38000000, v0
                                        ; implicit-def: $vgpr27
                                        ; implicit-def: $vgpr0
.LBB0_1360:                             ;   in Loop: Header=BB0_900 Depth=2
	s_andn2_saveexec_b64 s[74:75], s[74:75]
; %bb.1361:                             ;   in Loop: Header=BB0_900 Depth=2
	v_cmp_gt_i16_sdwa vcc, sext(v0), v7 src0_sel:BYTE_0 src1_sel:DWORD
	v_cndmask_b32_e32 v0, v8, v54, vcc
	v_cmp_eq_u32_e32 vcc, 0, v27
	v_cndmask_b32_e32 v18, v55, v0, vcc
; %bb.1362:                             ;   in Loop: Header=BB0_900 Depth=2
	s_or_b64 exec, exec, s[74:75]
.LBB0_1363:                             ;   in Loop: Header=BB0_900 Depth=2
	s_or_b64 exec, exec, s[72:73]
.LBB0_1364:                             ;   in Loop: Header=BB0_900 Depth=2
	s_or_b64 exec, exec, s[16:17]
	v_and_b32_sdwa v27, v2, s37 dst_sel:DWORD dst_unused:UNUSED_PAD src0_sel:WORD_1 src1_sel:DWORD
	v_lshrrev_b32_e32 v0, 16, v2
	v_cmp_ne_u16_e32 vcc, 0, v27
	s_and_saveexec_b64 s[16:17], vcc
	s_cbranch_execz .LBB0_1372
; %bb.1365:                             ;   in Loop: Header=BB0_900 Depth=2
	v_cmp_ne_u16_e32 vcc, s48, v27
	v_bfrev_b32_e32 v17, 1
	s_and_saveexec_b64 s[72:73], vcc
	s_cbranch_execz .LBB0_1371
; %bb.1366:                             ;   in Loop: Header=BB0_900 Depth=2
	v_and_b32_e32 v17, 0x7c0000, v2
	v_bfe_u32 v27, v2, 16, 2
	v_cmp_ne_u32_e32 vcc, s51, v17
                                        ; implicit-def: $vgpr17
	s_and_saveexec_b64 s[74:75], vcc
	s_xor_b64 s[74:75], exec, s[74:75]
	s_cbranch_execz .LBB0_1368
; %bb.1367:                             ;   in Loop: Header=BB0_900 Depth=2
	v_ffbh_u32_e32 v28, v27
	v_min_u32_e32 v28, 32, v28
	v_subrev_u32_e32 v30, 29, v28
	v_lshlrev_b64 v[32:33], v30, v[0:1]
	v_bfe_u32 v17, v2, 18, 5
	v_sub_u32_e32 v0, 30, v28
	v_and_b32_e32 v28, 3, v32
	v_cmp_eq_u32_e32 vcc, 0, v17
	v_cndmask_b32_e32 v0, v17, v0, vcc
	v_cndmask_b32_e32 v17, v27, v28, vcc
	v_lshlrev_b32_e32 v27, 8, v2
	v_and_b32_e32 v27, 0x80000000, v27
	v_lshl_add_u32 v0, v0, 23, v27
	v_lshl_or_b32 v0, v17, 21, v0
	v_add_u32_e32 v17, 0x38000000, v0
                                        ; implicit-def: $vgpr27
                                        ; implicit-def: $vgpr0
.LBB0_1368:                             ;   in Loop: Header=BB0_900 Depth=2
	s_andn2_saveexec_b64 s[74:75], s[74:75]
; %bb.1369:                             ;   in Loop: Header=BB0_900 Depth=2
	v_cmp_gt_i16_sdwa vcc, sext(v0), v7 src0_sel:BYTE_0 src1_sel:DWORD
	v_cndmask_b32_e32 v0, v8, v54, vcc
	v_cmp_eq_u32_e32 vcc, 0, v27
	v_cndmask_b32_e32 v17, v55, v0, vcc
; %bb.1370:                             ;   in Loop: Header=BB0_900 Depth=2
	s_or_b64 exec, exec, s[74:75]
.LBB0_1371:                             ;   in Loop: Header=BB0_900 Depth=2
	s_or_b64 exec, exec, s[72:73]
.LBB0_1372:                             ;   in Loop: Header=BB0_900 Depth=2
	s_or_b64 exec, exec, s[16:17]
	v_add_f32_e32 v28, v18, v17
	v_and_b32_e32 v32, 0x7f800000, v28
	v_mov_b32_e32 v33, v3
	v_cmp_ne_u64_e32 vcc, s[56:57], v[32:33]
	v_and_b32_e32 v17, 0x7fffff, v28
	v_mov_b32_e32 v18, v3
                                        ; implicit-def: $vgpr27
	s_and_saveexec_b64 s[16:17], vcc
	s_xor_b64 s[72:73], exec, s[16:17]
	s_cbranch_execz .LBB0_1386
; %bb.1373:                             ;   in Loop: Header=BB0_900 Depth=2
	v_and_b32_e32 v32, 0x7fffffff, v28
	v_mov_b32_e32 v33, v3
	v_cmp_gt_u64_e32 vcc, s[58:59], v[32:33]
	v_and_b32_sdwa v0, v28, s48 dst_sel:DWORD dst_unused:UNUSED_PAD src0_sel:BYTE_3 src1_sel:DWORD
                                        ; implicit-def: $vgpr27
	s_and_saveexec_b64 s[16:17], vcc
	s_xor_b64 s[74:75], exec, s[16:17]
	s_cbranch_execz .LBB0_1383
; %bb.1374:                             ;   in Loop: Header=BB0_900 Depth=2
	v_mov_b32_e32 v27, 0
	v_cmp_ne_u32_e32 vcc, 0, v28
	s_and_saveexec_b64 s[76:77], vcc
	s_cbranch_execz .LBB0_1382
; %bb.1375:                             ;   in Loop: Header=BB0_900 Depth=2
	v_bfe_u32 v30, v28, 23, 8
	v_cmp_gt_u32_e64 s[16:17], s49, v30
	v_sub_u32_e32 v27, 0x71, v30
	v_cmp_eq_u32_e32 vcc, 0, v30
	v_cndmask_b32_e64 v27, 0, v27, s[16:17]
	v_cndmask_b32_e32 v32, v27, v12, vcc
	v_or_b32_e32 v28, 0x800000, v17
	v_add_u32_e32 v27, 21, v32
	v_cndmask_b32_e32 v17, v28, v17, vcc
	v_lshlrev_b64 v[27:28], v27, -1
	v_add_u32_e32 v33, 20, v32
	v_bfi_b32 v27, v27, 0, v17
	v_lshlrev_b64 v[36:37], v33, 1
	v_lshrrev_b64 v[17:18], v32, v[17:18]
	v_bfi_b32 v28, v28, 0, 0
	v_cmp_eq_u64_e64 s[16:17], v[27:28], v[36:37]
	v_mov_b32_e32 v28, v18
	v_mov_b32_e32 v27, v17
	s_and_saveexec_b64 s[78:79], s[16:17]
; %bb.1376:                             ;   in Loop: Header=BB0_900 Depth=2
	v_bfe_u32 v18, v17, 21, 1
	v_add_co_u32_e64 v18, s[16:17], v17, v18
	v_add_co_u32_e64 v27, s[16:17], -1, v18
; %bb.1377:                             ;   in Loop: Header=BB0_900 Depth=2
	s_or_b64 exec, exec, s[78:79]
	v_add_u32_e32 v18, 0xffffff81, v30
	v_cndmask_b32_e32 v18, v18, v48, vcc
	v_lshrrev_b32_e32 v28, 23, v17
	v_add3_u32 v30, v32, v18, v28
	v_add_u32_e32 v28, 14, v30
	v_and_b32_e32 v18, 0x1fffff, v27
	v_add_u32_e32 v17, v18, v17
	v_mov_b32_e32 v18, v3
	v_cmp_ne_u32_e32 vcc, 0, v28
                                        ; implicit-def: $vgpr27
	s_and_saveexec_b64 s[16:17], vcc
	s_xor_b64 s[16:17], exec, s[16:17]
; %bb.1378:                             ;   in Loop: Header=BB0_900 Depth=2
	v_cmp_lt_u64_e32 vcc, s[60:61], v[17:18]
	v_add_u32_e32 v27, 15, v30
	v_cndmask_b32_e32 v27, v28, v27, vcc
	v_cndmask_b32_e64 v28, 0, 1, vcc
	v_lshrrev_b64 v[17:18], v28, v[17:18]
; %bb.1379:                             ;   in Loop: Header=BB0_900 Depth=2
	s_andn2_saveexec_b64 s[16:17], s[16:17]
; %bb.1380:                             ;   in Loop: Header=BB0_900 Depth=2
	v_bfe_u32 v27, v17, 23, 1
; %bb.1381:                             ;   in Loop: Header=BB0_900 Depth=2
	s_or_b64 exec, exec, s[16:17]
	v_lshrrev_b64 v[17:18], 21, v[17:18]
	v_cmp_gt_i32_e32 vcc, 32, v27
	v_cndmask_b32_e32 v18, 0, v18, vcc
	v_cndmask_b32_e32 v17, 3, v17, vcc
	v_cmp_eq_u64_e64 s[16:17], 0, v[17:18]
	v_min_i32_e32 v18, 31, v27
	v_lshlrev_b32_e32 v18, 2, v18
	v_cmp_eq_u32_e32 vcc, 0, v27
	v_and_b32_e32 v18, 0xfc, v18
	v_and_or_b32 v17, v17, 3, v18
	s_and_b64 s[16:17], vcc, s[16:17]
	v_cndmask_b32_e64 v17, v17, 0, s[16:17]
	v_or_b32_e32 v27, v17, v0
.LBB0_1382:                             ;   in Loop: Header=BB0_900 Depth=2
	s_or_b64 exec, exec, s[76:77]
                                        ; implicit-def: $vgpr0
.LBB0_1383:                             ;   in Loop: Header=BB0_900 Depth=2
	s_andn2_saveexec_b64 s[16:17], s[74:75]
; %bb.1384:                             ;   in Loop: Header=BB0_900 Depth=2
	v_or_b32_e32 v27, 0x7b, v0
; %bb.1385:                             ;   in Loop: Header=BB0_900 Depth=2
	s_or_b64 exec, exec, s[16:17]
                                        ; implicit-def: $vgpr28
                                        ; implicit-def: $vgpr17_vgpr18
.LBB0_1386:                             ;   in Loop: Header=BB0_900 Depth=2
	s_andn2_saveexec_b64 s[16:17], s[72:73]
	s_cbranch_execz .LBB0_1392
; %bb.1387:                             ;   in Loop: Header=BB0_900 Depth=2
	v_cmp_ne_u64_e32 vcc, 0, v[17:18]
                                        ; implicit-def: $vgpr27
	s_and_saveexec_b64 s[72:73], vcc
	s_xor_b64 s[72:73], exec, s[72:73]
; %bb.1388:                             ;   in Loop: Header=BB0_900 Depth=2
	v_or_b32_sdwa v27, v28, s50 dst_sel:DWORD dst_unused:UNUSED_PAD src0_sel:BYTE_3 src1_sel:DWORD
                                        ; implicit-def: $vgpr28
; %bb.1389:                             ;   in Loop: Header=BB0_900 Depth=2
	s_andn2_saveexec_b64 s[72:73], s[72:73]
; %bb.1390:                             ;   in Loop: Header=BB0_900 Depth=2
	v_cmp_lt_i32_e32 vcc, -1, v28
	v_cndmask_b32_e32 v27, v49, v11, vcc
; %bb.1391:                             ;   in Loop: Header=BB0_900 Depth=2
	s_or_b64 exec, exec, s[72:73]
.LBB0_1392:                             ;   in Loop: Header=BB0_900 Depth=2
	s_or_b64 exec, exec, s[16:17]
	v_mov_b32_e32 v18, v3
	v_cmp_lt_u64_e32 vcc, s[46:47], v[18:19]
	v_mov_b32_e32 v17, 0
	v_mov_b32_e32 v28, 0
	s_and_saveexec_b64 s[16:17], vcc
	s_cbranch_execz .LBB0_1400
; %bb.1393:                             ;   in Loop: Header=BB0_900 Depth=2
	v_lshrrev_b32_e32 v0, 24, v19
	v_cmp_ne_u32_e32 vcc, s48, v0
	v_bfrev_b32_e32 v28, 1
	s_and_saveexec_b64 s[72:73], vcc
	s_cbranch_execz .LBB0_1399
; %bb.1394:                             ;   in Loop: Header=BB0_900 Depth=2
	v_and_b32_e32 v28, 0x7c000000, v19
	v_bfe_u32 v30, v19, 24, 2
	v_cmp_ne_u32_e32 vcc, s52, v28
                                        ; implicit-def: $vgpr28
	s_and_saveexec_b64 s[74:75], vcc
	s_xor_b64 s[74:75], exec, s[74:75]
	s_cbranch_execz .LBB0_1396
; %bb.1395:                             ;   in Loop: Header=BB0_900 Depth=2
	v_ffbh_u32_e32 v28, v30
	v_min_u32_e32 v28, 32, v28
	v_subrev_u32_e32 v32, 29, v28
	v_bfe_u32 v18, v19, 26, 5
	v_lshlrev_b64 v[32:33], v32, v[0:1]
	v_sub_u32_e32 v0, 30, v28
	v_cmp_eq_u32_e32 vcc, 0, v18
	v_and_b32_e32 v28, 3, v32
	v_cndmask_b32_e32 v0, v18, v0, vcc
	v_and_b32_e32 v19, 0x80000000, v19
	v_cndmask_b32_e32 v18, v30, v28, vcc
	v_lshl_add_u32 v0, v0, 23, v19
	v_lshl_or_b32 v0, v18, 21, v0
	v_add_u32_e32 v28, 0x38000000, v0
                                        ; implicit-def: $vgpr30
                                        ; implicit-def: $vgpr18_vgpr19
.LBB0_1396:                             ;   in Loop: Header=BB0_900 Depth=2
	s_andn2_saveexec_b64 s[74:75], s[74:75]
; %bb.1397:                             ;   in Loop: Header=BB0_900 Depth=2
	v_cmp_lt_i64_e32 vcc, -1, v[18:19]
	v_cndmask_b32_e32 v0, v8, v54, vcc
	v_cmp_eq_u32_e32 vcc, 0, v30
	v_cndmask_b32_e32 v28, v55, v0, vcc
; %bb.1398:                             ;   in Loop: Header=BB0_900 Depth=2
	s_or_b64 exec, exec, s[74:75]
.LBB0_1399:                             ;   in Loop: Header=BB0_900 Depth=2
	s_or_b64 exec, exec, s[72:73]
.LBB0_1400:                             ;   in Loop: Header=BB0_900 Depth=2
	s_or_b64 exec, exec, s[16:17]
	v_cmp_lt_u32_e32 vcc, s47, v2
	s_and_saveexec_b64 s[16:17], vcc
	s_cbranch_execz .LBB0_1408
; %bb.1401:                             ;   in Loop: Header=BB0_900 Depth=2
	v_lshrrev_b32_e32 v0, 24, v2
	v_cmp_ne_u32_e32 vcc, s48, v0
	v_bfrev_b32_e32 v17, 1
	s_and_saveexec_b64 s[72:73], vcc
	s_cbranch_execz .LBB0_1407
; %bb.1402:                             ;   in Loop: Header=BB0_900 Depth=2
	v_and_b32_e32 v17, 0x7c000000, v2
	v_bfe_u32 v18, v2, 24, 2
	v_cmp_ne_u32_e32 vcc, s52, v17
                                        ; implicit-def: $vgpr17
	s_and_saveexec_b64 s[74:75], vcc
	s_xor_b64 s[74:75], exec, s[74:75]
	s_cbranch_execz .LBB0_1404
; %bb.1403:                             ;   in Loop: Header=BB0_900 Depth=2
	v_ffbh_u32_e32 v19, v18
	v_min_u32_e32 v19, 32, v19
	v_subrev_u32_e32 v30, 29, v19
	v_bfe_u32 v17, v2, 26, 5
	v_lshlrev_b64 v[32:33], v30, v[0:1]
	v_sub_u32_e32 v0, 30, v19
	v_cmp_eq_u32_e32 vcc, 0, v17
	v_and_b32_e32 v19, 3, v32
	v_cndmask_b32_e32 v0, v17, v0, vcc
	v_and_b32_e32 v2, 0x80000000, v2
	v_cndmask_b32_e32 v17, v18, v19, vcc
	v_lshl_add_u32 v0, v0, 23, v2
	v_lshl_or_b32 v0, v17, 21, v0
	v_add_u32_e32 v17, 0x38000000, v0
                                        ; implicit-def: $vgpr18
.LBB0_1404:                             ;   in Loop: Header=BB0_900 Depth=2
	s_andn2_saveexec_b64 s[74:75], s[74:75]
; %bb.1405:                             ;   in Loop: Header=BB0_900 Depth=2
	v_cmp_lt_i32_e32 vcc, -1, v2
	v_cndmask_b32_e32 v0, v8, v54, vcc
	v_cmp_eq_u32_e32 vcc, 0, v18
	v_cndmask_b32_e32 v17, v55, v0, vcc
; %bb.1406:                             ;   in Loop: Header=BB0_900 Depth=2
	s_or_b64 exec, exec, s[74:75]
.LBB0_1407:                             ;   in Loop: Header=BB0_900 Depth=2
	s_or_b64 exec, exec, s[72:73]
.LBB0_1408:                             ;   in Loop: Header=BB0_900 Depth=2
	s_or_b64 exec, exec, s[16:17]
	v_add_f32_e32 v17, v28, v17
	v_and_b32_e32 v18, 0x7f800000, v17
	v_mov_b32_e32 v19, v3
	v_cmp_ne_u64_e32 vcc, s[56:57], v[18:19]
	v_and_b32_e32 v2, 0x7fffff, v17
                                        ; implicit-def: $vgpr18
	s_and_saveexec_b64 s[16:17], vcc
	s_xor_b64 s[72:73], exec, s[16:17]
	s_cbranch_execz .LBB0_1422
; %bb.1409:                             ;   in Loop: Header=BB0_900 Depth=2
	v_and_b32_e32 v18, 0x7fffffff, v17
	v_mov_b32_e32 v19, v3
	v_cmp_gt_u64_e32 vcc, s[58:59], v[18:19]
	v_and_b32_sdwa v0, v17, s48 dst_sel:DWORD dst_unused:UNUSED_PAD src0_sel:BYTE_3 src1_sel:DWORD
                                        ; implicit-def: $vgpr18
	s_and_saveexec_b64 s[16:17], vcc
	s_xor_b64 s[74:75], exec, s[16:17]
	s_cbranch_execz .LBB0_1419
; %bb.1410:                             ;   in Loop: Header=BB0_900 Depth=2
	v_mov_b32_e32 v18, 0
	v_cmp_ne_u32_e32 vcc, 0, v17
	s_and_saveexec_b64 s[76:77], vcc
	s_cbranch_execz .LBB0_1418
; %bb.1411:                             ;   in Loop: Header=BB0_900 Depth=2
	v_bfe_u32 v28, v17, 23, 8
	v_cmp_gt_u32_e64 s[16:17], s49, v28
	v_sub_u32_e32 v17, 0x71, v28
	v_cmp_eq_u32_e32 vcc, 0, v28
	v_cndmask_b32_e64 v17, 0, v17, s[16:17]
	v_cndmask_b32_e32 v30, v17, v12, vcc
	v_or_b32_e32 v18, 0x800000, v2
	v_add_u32_e32 v17, 21, v30
	v_cndmask_b32_e32 v2, v18, v2, vcc
	v_lshlrev_b64 v[17:18], v17, -1
	v_add_u32_e32 v19, 20, v30
	v_lshlrev_b64 v[32:33], v19, 1
	v_bfi_b32 v18, v18, 0, 0
	v_bfi_b32 v17, v17, 0, v2
	v_cmp_eq_u64_e64 s[16:17], v[17:18], v[32:33]
	v_lshrrev_b64 v[17:18], v30, v[2:3]
	v_mov_b32_e32 v19, v18
	v_mov_b32_e32 v18, v17
	s_and_saveexec_b64 s[78:79], s[16:17]
; %bb.1412:                             ;   in Loop: Header=BB0_900 Depth=2
	v_bfe_u32 v2, v17, 21, 1
	v_add_co_u32_e64 v2, s[16:17], v17, v2
	v_add_co_u32_e64 v18, s[16:17], -1, v2
; %bb.1413:                             ;   in Loop: Header=BB0_900 Depth=2
	s_or_b64 exec, exec, s[78:79]
	v_add_u32_e32 v2, 0xffffff81, v28
	v_cndmask_b32_e32 v2, v2, v48, vcc
	v_lshrrev_b32_e32 v19, 23, v17
	v_add3_u32 v30, v30, v2, v19
	v_add_u32_e32 v28, 14, v30
	v_and_b32_e32 v2, 0x1fffff, v18
	v_add_u32_e32 v2, v2, v17
	v_cmp_ne_u32_e32 vcc, 0, v28
                                        ; implicit-def: $vgpr17_vgpr18
                                        ; implicit-def: $vgpr19
	s_and_saveexec_b64 s[16:17], vcc
	s_xor_b64 s[16:17], exec, s[16:17]
; %bb.1414:                             ;   in Loop: Header=BB0_900 Depth=2
	v_cmp_lt_u64_e32 vcc, s[60:61], v[2:3]
	v_add_u32_e32 v17, 15, v30
	v_cndmask_b32_e32 v19, v28, v17, vcc
	v_cndmask_b32_e64 v17, 0, 1, vcc
	v_lshrrev_b64 v[17:18], v17, v[2:3]
; %bb.1415:                             ;   in Loop: Header=BB0_900 Depth=2
	s_andn2_saveexec_b64 s[16:17], s[16:17]
; %bb.1416:                             ;   in Loop: Header=BB0_900 Depth=2
	v_mov_b32_e32 v18, v3
	v_bfe_u32 v19, v2, 23, 1
	v_mov_b32_e32 v17, v2
; %bb.1417:                             ;   in Loop: Header=BB0_900 Depth=2
	s_or_b64 exec, exec, s[16:17]
	v_lshrrev_b64 v[17:18], 21, v[17:18]
	v_cmp_gt_i32_e32 vcc, 32, v19
	v_cndmask_b32_e32 v18, 0, v18, vcc
	v_cndmask_b32_e32 v17, 3, v17, vcc
	v_min_i32_e32 v2, 31, v19
	v_cmp_eq_u64_e64 s[16:17], 0, v[17:18]
	v_lshlrev_b32_e32 v2, 2, v2
	v_cmp_eq_u32_e32 vcc, 0, v19
	v_and_b32_e32 v2, 0xfc, v2
	v_and_or_b32 v2, v17, 3, v2
	s_and_b64 s[16:17], vcc, s[16:17]
	v_cndmask_b32_e64 v2, v2, 0, s[16:17]
	v_or_b32_e32 v18, v2, v0
.LBB0_1418:                             ;   in Loop: Header=BB0_900 Depth=2
	s_or_b64 exec, exec, s[76:77]
                                        ; implicit-def: $vgpr0
.LBB0_1419:                             ;   in Loop: Header=BB0_900 Depth=2
	s_andn2_saveexec_b64 s[16:17], s[74:75]
; %bb.1420:                             ;   in Loop: Header=BB0_900 Depth=2
	v_or_b32_e32 v18, 0x7b, v0
; %bb.1421:                             ;   in Loop: Header=BB0_900 Depth=2
	s_or_b64 exec, exec, s[16:17]
                                        ; implicit-def: $vgpr17
.LBB0_1422:                             ;   in Loop: Header=BB0_900 Depth=2
	s_andn2_saveexec_b64 s[16:17], s[72:73]
	s_cbranch_execz .LBB0_1428
; %bb.1423:                             ;   in Loop: Header=BB0_900 Depth=2
	v_cmp_ne_u64_e32 vcc, 0, v[2:3]
                                        ; implicit-def: $vgpr18
	s_and_saveexec_b64 s[72:73], vcc
	s_xor_b64 s[72:73], exec, s[72:73]
; %bb.1424:                             ;   in Loop: Header=BB0_900 Depth=2
	v_or_b32_sdwa v18, v17, s50 dst_sel:DWORD dst_unused:UNUSED_PAD src0_sel:BYTE_3 src1_sel:DWORD
                                        ; implicit-def: $vgpr17
; %bb.1425:                             ;   in Loop: Header=BB0_900 Depth=2
	s_andn2_saveexec_b64 s[72:73], s[72:73]
; %bb.1426:                             ;   in Loop: Header=BB0_900 Depth=2
	v_cmp_lt_i32_e32 vcc, -1, v17
	v_cndmask_b32_e32 v18, v49, v11, vcc
; %bb.1427:                             ;   in Loop: Header=BB0_900 Depth=2
	s_or_b64 exec, exec, s[72:73]
.LBB0_1428:                             ;   in Loop: Header=BB0_900 Depth=2
	s_or_b64 exec, exec, s[16:17]
	v_lshlrev_b32_e32 v0, 16, v29
	v_lshlrev_b32_e32 v2, 24, v23
	v_lshl_or_b32 v0, v31, 8, v0
	v_or3_b32 v17, v0, v2, v10
	v_lshlrev_b32_e32 v2, 16, v27
	v_lshlrev_b32_e32 v0, 24, v18
	v_lshl_or_b32 v2, v24, 8, v2
	v_cmp_lt_u32_e32 vcc, 7, v4
	v_or3_b32 v18, v2, v0, v20
	s_cmp_lg_u64 vcc, exec
	s_mov_b64 s[16:17], -1
	s_cbranch_scc0 .LBB0_1438
; %bb.1429:                             ;   in Loop: Header=BB0_900 Depth=2
	v_cmp_ne_u32_e64 s[16:17], 1, v4
	flat_store_byte v[46:47], v10
	s_and_saveexec_b64 s[72:73], s[16:17]
	s_cbranch_execnz .LBB0_1440
; %bb.1430:                             ;   in Loop: Header=BB0_900 Depth=2
	s_or_b64 exec, exec, s[72:73]
	v_cmp_lt_u32_e64 s[16:17], 2, v4
	s_and_saveexec_b64 s[72:73], s[16:17]
	s_cbranch_execnz .LBB0_1441
.LBB0_1431:                             ;   in Loop: Header=BB0_900 Depth=2
	s_or_b64 exec, exec, s[72:73]
	v_cmp_lt_u32_e64 s[16:17], 3, v4
	s_and_saveexec_b64 s[72:73], s[16:17]
	s_cbranch_execnz .LBB0_1442
.LBB0_1432:                             ;   in Loop: Header=BB0_900 Depth=2
	s_or_b64 exec, exec, s[72:73]
	v_cmp_lt_u32_e64 s[16:17], 4, v4
	s_and_saveexec_b64 s[72:73], s[16:17]
	s_cbranch_execnz .LBB0_1443
.LBB0_1433:                             ;   in Loop: Header=BB0_900 Depth=2
	s_or_b64 exec, exec, s[72:73]
	v_cmp_lt_u32_e64 s[16:17], 5, v4
	s_and_saveexec_b64 s[72:73], s[16:17]
	s_cbranch_execnz .LBB0_1444
.LBB0_1434:                             ;   in Loop: Header=BB0_900 Depth=2
	s_or_b64 exec, exec, s[72:73]
	v_cmp_lt_u32_e64 s[16:17], 6, v4
	s_and_saveexec_b64 s[72:73], s[16:17]
	s_cbranch_execnz .LBB0_1445
.LBB0_1435:                             ;   in Loop: Header=BB0_900 Depth=2
	s_or_b64 exec, exec, s[72:73]
	s_and_saveexec_b64 s[16:17], vcc
	s_cbranch_execz .LBB0_1437
.LBB0_1436:                             ;   in Loop: Header=BB0_900 Depth=2
	v_lshrrev_b32_e32 v0, 24, v18
	flat_store_byte v[46:47], v0 offset:7
.LBB0_1437:                             ;   in Loop: Header=BB0_900 Depth=2
	s_or_b64 exec, exec, s[16:17]
	s_mov_b64 s[16:17], 0
.LBB0_1438:                             ;   in Loop: Header=BB0_900 Depth=2
	s_and_b64 vcc, exec, s[16:17]
	s_cbranch_vccz .LBB0_899
; %bb.1439:                             ;   in Loop: Header=BB0_900 Depth=2
	global_store_dwordx2 v[46:47], v[17:18], off
	s_branch .LBB0_899
.LBB0_1440:                             ;   in Loop: Header=BB0_900 Depth=2
	v_lshrrev_b32_e32 v0, 8, v17
	flat_store_byte v[46:47], v0 offset:1
	s_or_b64 exec, exec, s[72:73]
	v_cmp_lt_u32_e64 s[16:17], 2, v4
	s_and_saveexec_b64 s[72:73], s[16:17]
	s_cbranch_execz .LBB0_1431
.LBB0_1441:                             ;   in Loop: Header=BB0_900 Depth=2
	flat_store_byte_d16_hi v[46:47], v17 offset:2
	s_or_b64 exec, exec, s[72:73]
	v_cmp_lt_u32_e64 s[16:17], 3, v4
	s_and_saveexec_b64 s[72:73], s[16:17]
	s_cbranch_execz .LBB0_1432
.LBB0_1442:                             ;   in Loop: Header=BB0_900 Depth=2
	v_lshrrev_b32_e32 v0, 24, v17
	flat_store_byte v[46:47], v0 offset:3
	s_or_b64 exec, exec, s[72:73]
	v_cmp_lt_u32_e64 s[16:17], 4, v4
	s_and_saveexec_b64 s[72:73], s[16:17]
	s_cbranch_execz .LBB0_1433
.LBB0_1443:                             ;   in Loop: Header=BB0_900 Depth=2
	flat_store_byte v[46:47], v20 offset:4
	s_or_b64 exec, exec, s[72:73]
	v_cmp_lt_u32_e64 s[16:17], 5, v4
	s_and_saveexec_b64 s[72:73], s[16:17]
	s_cbranch_execz .LBB0_1434
.LBB0_1444:                             ;   in Loop: Header=BB0_900 Depth=2
	v_lshrrev_b32_e32 v0, 8, v18
	flat_store_byte v[46:47], v0 offset:5
	s_or_b64 exec, exec, s[72:73]
	v_cmp_lt_u32_e64 s[16:17], 6, v4
	s_and_saveexec_b64 s[72:73], s[16:17]
	s_cbranch_execz .LBB0_1435
.LBB0_1445:                             ;   in Loop: Header=BB0_900 Depth=2
	flat_store_byte_d16_hi v[46:47], v18 offset:6
	s_or_b64 exec, exec, s[72:73]
	s_and_saveexec_b64 s[16:17], vcc
	s_cbranch_execnz .LBB0_1436
	s_branch .LBB0_1437
.LBB0_1446:                             ;   in Loop: Header=BB0_32 Depth=1
	s_or_b64 exec, exec, s[62:63]
	buffer_load_dword v43, off, s[0:3], s32 offset:68 ; 4-byte Folded Reload
	buffer_load_dword v44, off, s[0:3], s32 offset:72 ; 4-byte Folded Reload
.LBB0_1447:                             ;   in Loop: Header=BB0_32 Depth=1
	s_or_b64 exec, exec, s[18:19]
	buffer_load_dword v17, off, s[0:3], s32 offset:164 ; 4-byte Folded Reload
	buffer_load_dword v18, off, s[0:3], s32 offset:168 ; 4-byte Folded Reload
	;; [unrolled: 1-line block ×8, first 2 shown]
	s_waitcnt vmcnt(0)
	v_mov_b32_e32 v27, v20
	v_mov_b32_e32 v26, v19
	s_and_saveexec_b64 s[16:17], s[10:11]
	s_cbranch_execz .LBB0_1466
; %bb.1448:                             ;   in Loop: Header=BB0_32 Depth=1
	s_and_saveexec_b64 s[18:19], s[40:41]
	s_xor_b64 s[18:19], exec, s[18:19]
	s_cbranch_execz .LBB0_1463
; %bb.1449:                             ;   in Loop: Header=BB0_32 Depth=1
	s_and_saveexec_b64 s[62:63], s[12:13]
	s_cbranch_execz .LBB0_1462
; %bb.1450:                             ;   in Loop: Header=BB0_32 Depth=1
	s_mov_b64 s[74:75], exec
	s_waitcnt lgkmcnt(0)
	v_mbcnt_lo_u32_b32 v0, s74, 0
	v_mbcnt_hi_u32_b32 v0, s75, v0
	v_cmp_eq_u32_e32 vcc, 0, v0
	buffer_wbinvl1_vol
	s_and_saveexec_b64 s[72:73], vcc
	s_cbranch_execz .LBB0_1452
; %bb.1451:                             ;   in Loop: Header=BB0_32 Depth=1
	s_bcnt1_i32_b64 s26, s[74:75]
	v_mov_b32_e32 v2, s26
	ds_add_u64 v0, v[2:3]
	s_trap 2
.LBB0_1452:                             ;   in Loop: Header=BB0_32 Depth=1
	s_or_b64 exec, exec, s[72:73]
	s_trap 2
	ds_read_b64 v[17:18], v0
	s_waitcnt lgkmcnt(0)
	buffer_load_dword v0, off, s[0:3], s32 offset:132 ; 4-byte Folded Reload
	s_waitcnt vmcnt(0)
	v_add_co_u32_e32 v40, vcc, v40, v0
	v_addc_co_u32_e32 v41, vcc, 0, v41, vcc
	v_cmp_lt_u64_e32 vcc, v[17:18], v[40:41]
	s_and_saveexec_b64 s[72:73], vcc
	s_cbranch_execz .LBB0_1461
; %bb.1453:                             ;   in Loop: Header=BB0_32 Depth=1
	s_mov_b32 s26, 0
	s_mov_b64 s[74:75], 0
                                        ; implicit-def: $sgpr76_sgpr77
                                        ; implicit-def: $sgpr78_sgpr79
	s_branch .LBB0_1455
.LBB0_1454:                             ;   in Loop: Header=BB0_1455 Depth=2
	s_or_b64 exec, exec, s[90:91]
	s_and_b64 s[88:89], exec, s[92:93]
	s_or_b64 s[74:75], s[88:89], s[74:75]
	s_andn2_b64 s[76:77], s[76:77], exec
	s_and_b64 s[88:89], s[78:79], exec
	s_or_b64 s[76:77], s[76:77], s[88:89]
	s_andn2_b64 exec, exec, s[74:75]
	s_cbranch_execz .LBB0_1459
.LBB0_1455:                             ;   Parent Loop BB0_32 Depth=1
                                        ; =>  This Inner Loop Header: Depth=2
	s_add_i32 s26, s26, 1
	s_cmpk_lg_i32 s26, 0x2710
	s_cselect_b64 s[88:89], -1, 0
	s_and_b64 vcc, exec, s[88:89]
	s_cbranch_vccz .LBB0_1457
; %bb.1456:                             ;   in Loop: Header=BB0_1455 Depth=2
	s_mov_b64 s[92:93], -1
	s_or_b64 s[78:79], s[78:79], exec
	s_and_saveexec_b64 s[90:91], s[88:89]
	s_cbranch_execz .LBB0_1454
	s_branch .LBB0_1458
.LBB0_1457:                             ;   in Loop: Header=BB0_1455 Depth=2
	s_trap 2
	ds_read_b64 v[17:18], v0
	s_andn2_b64 s[88:89], s[88:89], exec
	s_mov_b32 s26, 0
	s_waitcnt lgkmcnt(0)
	flat_load_dword v0, v[17:18] glc
	s_waitcnt vmcnt(0) lgkmcnt(0)
	buffer_wbinvl1_vol
	v_cmp_eq_u32_e32 vcc, 0, v0
	s_and_b64 s[90:91], vcc, exec
	s_or_b64 s[88:89], s[88:89], s[90:91]
	s_mov_b64 s[92:93], -1
	s_or_b64 s[78:79], s[78:79], exec
	s_and_saveexec_b64 s[90:91], s[88:89]
	s_cbranch_execz .LBB0_1454
.LBB0_1458:                             ;   in Loop: Header=BB0_1455 Depth=2
	s_sleep 1
	s_trap 2
	ds_read_b64 v[17:18], v0
	s_waitcnt lgkmcnt(0)
	s_andn2_b64 s[78:79], s[78:79], exec
	v_cmp_ge_u64_e32 vcc, v[17:18], v[40:41]
	s_orn2_b64 s[92:93], vcc, exec
	s_branch .LBB0_1454
.LBB0_1459:                             ;   in Loop: Header=BB0_32 Depth=1
	s_or_b64 exec, exec, s[74:75]
	s_and_saveexec_b64 s[74:75], s[76:77]
	s_xor_b64 s[74:75], exec, s[74:75]
	s_cbranch_execz .LBB0_1461
; %bb.1460:                             ;   in Loop: Header=BB0_32 Depth=1
	v_mov_b32_e32 v0, 1
	ds_write_b32 v0, v0
	s_trap 2
.LBB0_1461:                             ;   in Loop: Header=BB0_32 Depth=1
	s_or_b64 exec, exec, s[72:73]
	;;#ASMSTART
	s_wakeup
	;;#ASMEND
.LBB0_1462:                             ;   in Loop: Header=BB0_32 Depth=1
	s_or_b64 exec, exec, s[62:63]
.LBB0_1463:                             ;   in Loop: Header=BB0_32 Depth=1
	s_andn2_saveexec_b64 s[18:19], s[18:19]
	s_cbranch_execz .LBB0_1465
; %bb.1464:                             ;   in Loop: Header=BB0_32 Depth=1
	s_waitcnt lgkmcnt(0)
	buffer_wbinvl1_vol
	s_barrier
.LBB0_1465:                             ;   in Loop: Header=BB0_32 Depth=1
	s_or_b64 exec, exec, s[18:19]
.LBB0_1466:                             ;   in Loop: Header=BB0_32 Depth=1
	s_or_b64 exec, exec, s[16:17]
	s_and_saveexec_b64 s[16:17], s[14:15]
	s_cbranch_execz .LBB0_31
; %bb.1467:                             ;   in Loop: Header=BB0_32 Depth=1
	buffer_load_dword v17, off, s[0:3], s32 offset:96 ; 4-byte Folded Reload
	buffer_load_dword v18, off, s[0:3], s32 offset:100 ; 4-byte Folded Reload
	v_add_co_u32_e32 v43, vcc, 1, v43
	v_addc_co_u32_e32 v44, vcc, 0, v44, vcc
	s_waitcnt vmcnt(0)
	flat_store_dwordx2 v[17:18], v[43:44]
	s_branch .LBB0_31
.LBB0_1468:
	s_or_b64 exec, exec, s[28:29]
	buffer_load_dword v31, off, s[0:3], s32 offset:244 ; 4-byte Folded Reload
	buffer_load_dword v11, off, s[0:3], s32 offset:248 ; 4-byte Folded Reload
	;; [unrolled: 1-line block ×6, first 2 shown]
	s_or_b64 exec, exec, s[24:25]
	s_and_saveexec_b64 s[6:7], s[22:23]
	s_cbranch_execz .LBB0_28
.LBB0_1469:
	s_waitcnt vmcnt(0) lgkmcnt(0)
	flat_store_dwordx2 v[28:29], v[43:44] offset:104
	s_or_b64 exec, exec, s[6:7]
	s_and_saveexec_b64 s[6:7], s[4:5]
	s_cbranch_execz .LBB0_29
.LBB0_1470:
	s_waitcnt vmcnt(0) lgkmcnt(0)
	flat_store_dwordx2 v[8:9], v[15:16] offset:104
	s_or_b64 exec, exec, s[6:7]
	v_cmp_ne_u32_e32 vcc, 64, v1
	s_and_saveexec_b64 s[4:5], vcc
	s_cbranch_execz .LBB0_1488
.LBB0_1471:
	s_waitcnt vmcnt(0)
	v_cmp_ne_u32_sdwa s[6:7], v1, v11 src0_sel:DWORD src1_sel:WORD_0
	s_and_saveexec_b64 s[8:9], s[6:7]
	s_xor_b64 s[6:7], exec, s[8:9]
	s_cbranch_execz .LBB0_1486
; %bb.1472:
	s_waitcnt lgkmcnt(0)
	v_and_b32_e32 v0, 63, v31
	v_cmp_eq_u32_e32 vcc, 0, v0
	s_and_saveexec_b64 s[8:9], vcc
	s_cbranch_execz .LBB0_1485
; %bb.1473:
	s_mov_b64 s[12:13], exec
	v_mbcnt_lo_u32_b32 v0, s12, 0
	v_mbcnt_hi_u32_b32 v0, s13, v0
	v_cmp_eq_u32_e32 vcc, 0, v0
	buffer_wbinvl1_vol
	s_and_saveexec_b64 s[10:11], vcc
	s_cbranch_execz .LBB0_1475
; %bb.1474:
	s_bcnt1_i32_b64 s12, s[12:13]
	v_mov_b32_e32 v2, s12
	v_mov_b32_e32 v3, 0
	ds_add_u64 v0, v[2:3]
	s_trap 2
.LBB0_1475:
	s_or_b64 exec, exec, s[10:11]
	v_lshrrev_b32_e32 v0, 6, v1
	s_trap 2
	ds_read_b64 v[2:3], v0
	s_waitcnt lgkmcnt(0)
	v_add_co_u32_e32 v0, vcc, v40, v0
	v_addc_co_u32_e32 v1, vcc, 0, v41, vcc
	v_cmp_lt_u64_e32 vcc, v[2:3], v[0:1]
	s_and_saveexec_b64 s[10:11], vcc
	s_cbranch_execz .LBB0_1484
; %bb.1476:
	s_mov_b32 s24, 0
	s_mov_b64 s[12:13], 0
                                        ; implicit-def: $sgpr14_sgpr15
                                        ; implicit-def: $sgpr16_sgpr17
	s_branch .LBB0_1478
.LBB0_1477:                             ;   in Loop: Header=BB0_1478 Depth=1
	s_or_b64 exec, exec, s[20:21]
	s_and_b64 s[18:19], exec, s[22:23]
	s_or_b64 s[12:13], s[18:19], s[12:13]
	s_andn2_b64 s[14:15], s[14:15], exec
	s_and_b64 s[18:19], s[16:17], exec
	s_or_b64 s[14:15], s[14:15], s[18:19]
	s_andn2_b64 exec, exec, s[12:13]
	s_cbranch_execz .LBB0_1482
.LBB0_1478:                             ; =>This Inner Loop Header: Depth=1
	s_add_i32 s24, s24, 1
	s_cmpk_lg_i32 s24, 0x2710
	s_cselect_b64 s[18:19], -1, 0
	s_and_b64 vcc, exec, s[18:19]
	s_cbranch_vccz .LBB0_1480
; %bb.1479:                             ;   in Loop: Header=BB0_1478 Depth=1
	s_mov_b64 s[22:23], -1
	s_or_b64 s[16:17], s[16:17], exec
	s_and_saveexec_b64 s[20:21], s[18:19]
	s_cbranch_execz .LBB0_1477
	s_branch .LBB0_1481
.LBB0_1480:                             ;   in Loop: Header=BB0_1478 Depth=1
	s_trap 2
	ds_read_b64 v[2:3], v0
	s_andn2_b64 s[18:19], s[18:19], exec
	s_mov_b32 s24, 0
	s_waitcnt lgkmcnt(0)
	flat_load_dword v2, v[2:3] glc
	s_waitcnt vmcnt(0) lgkmcnt(0)
	buffer_wbinvl1_vol
	v_cmp_eq_u32_e32 vcc, 0, v2
	s_and_b64 s[20:21], vcc, exec
	s_or_b64 s[18:19], s[18:19], s[20:21]
	s_mov_b64 s[22:23], -1
	s_or_b64 s[16:17], s[16:17], exec
	s_and_saveexec_b64 s[20:21], s[18:19]
	s_cbranch_execz .LBB0_1477
.LBB0_1481:                             ;   in Loop: Header=BB0_1478 Depth=1
	s_sleep 1
	s_trap 2
	ds_read_b64 v[2:3], v0
	s_waitcnt lgkmcnt(0)
	s_andn2_b64 s[16:17], s[16:17], exec
	v_cmp_ge_u64_e32 vcc, v[2:3], v[0:1]
	s_orn2_b64 s[22:23], vcc, exec
	s_branch .LBB0_1477
.LBB0_1482:
	s_or_b64 exec, exec, s[12:13]
	s_and_saveexec_b64 s[12:13], s[14:15]
	s_xor_b64 s[12:13], exec, s[12:13]
	s_cbranch_execz .LBB0_1484
; %bb.1483:
	v_mov_b32_e32 v0, 1
	ds_write_b32 v0, v0
	s_trap 2
.LBB0_1484:
	s_or_b64 exec, exec, s[10:11]
	;;#ASMSTART
	s_wakeup
	;;#ASMEND
.LBB0_1485:
	s_or_b64 exec, exec, s[8:9]
.LBB0_1486:
	s_andn2_saveexec_b64 s[6:7], s[6:7]
	s_cbranch_execz .LBB0_1488
; %bb.1487:
	s_waitcnt lgkmcnt(0)
	buffer_wbinvl1_vol
	s_barrier
.LBB0_1488:
	s_or_b64 exec, exec, s[4:5]
	buffer_load_dword v62, off, s[0:3], s32 ; 4-byte Folded Reload
	buffer_load_dword v61, off, s[0:3], s32 offset:4 ; 4-byte Folded Reload
	buffer_load_dword v60, off, s[0:3], s32 offset:8 ; 4-byte Folded Reload
	;; [unrolled: 1-line block ×9, first 2 shown]
	s_waitcnt lgkmcnt(0)
	buffer_load_dword v44, off, s[0:3], s32 offset:40 ; 4-byte Folded Reload
	buffer_load_dword v43, off, s[0:3], s32 offset:44 ; 4-byte Folded Reload
	;; [unrolled: 1-line block ×5, first 2 shown]
	v_readlane_b32 s30, v63, 12
	v_readlane_b32 s31, v63, 13
	;; [unrolled: 1-line block ×14, first 2 shown]
	s_or_saveexec_b64 s[4:5], -1
	buffer_load_dword v63, off, s[0:3], s32 offset:268 ; 4-byte Folded Reload
	s_mov_b64 exec, s[4:5]
	s_waitcnt vmcnt(0)
	s_setpc_b64 s[30:31]
.Lfunc_end0:
	.size	_ZN12_GLOBAL__N_17runRingI14__hip_fp8_e5m213FuncPreMulSumIS1_E7ProtoLLLi0ELi1ELi0EEEviiP15ncclDevWorkColl, .Lfunc_end0-_ZN12_GLOBAL__N_17runRingI14__hip_fp8_e5m213FuncPreMulSumIS1_E7ProtoLLLi0ELi1ELi0EEEviiP15ncclDevWorkColl
                                        ; -- End function
	.set .L_ZN12_GLOBAL__N_17runRingI14__hip_fp8_e5m213FuncPreMulSumIS1_E7ProtoLLLi0ELi1ELi0EEEviiP15ncclDevWorkColl.num_vgpr, 64
	.set .L_ZN12_GLOBAL__N_17runRingI14__hip_fp8_e5m213FuncPreMulSumIS1_E7ProtoLLLi0ELi1ELi0EEEviiP15ncclDevWorkColl.num_agpr, 0
	.set .L_ZN12_GLOBAL__N_17runRingI14__hip_fp8_e5m213FuncPreMulSumIS1_E7ProtoLLLi0ELi1ELi0EEEviiP15ncclDevWorkColl.numbered_sgpr, 96
	.set .L_ZN12_GLOBAL__N_17runRingI14__hip_fp8_e5m213FuncPreMulSumIS1_E7ProtoLLLi0ELi1ELi0EEEviiP15ncclDevWorkColl.num_named_barrier, 0
	.set .L_ZN12_GLOBAL__N_17runRingI14__hip_fp8_e5m213FuncPreMulSumIS1_E7ProtoLLLi0ELi1ELi0EEEviiP15ncclDevWorkColl.private_seg_size, 276
	.set .L_ZN12_GLOBAL__N_17runRingI14__hip_fp8_e5m213FuncPreMulSumIS1_E7ProtoLLLi0ELi1ELi0EEEviiP15ncclDevWorkColl.uses_vcc, 1
	.set .L_ZN12_GLOBAL__N_17runRingI14__hip_fp8_e5m213FuncPreMulSumIS1_E7ProtoLLLi0ELi1ELi0EEEviiP15ncclDevWorkColl.uses_flat_scratch, 0
	.set .L_ZN12_GLOBAL__N_17runRingI14__hip_fp8_e5m213FuncPreMulSumIS1_E7ProtoLLLi0ELi1ELi0EEEviiP15ncclDevWorkColl.has_dyn_sized_stack, 0
	.set .L_ZN12_GLOBAL__N_17runRingI14__hip_fp8_e5m213FuncPreMulSumIS1_E7ProtoLLLi0ELi1ELi0EEEviiP15ncclDevWorkColl.has_recursion, 0
	.set .L_ZN12_GLOBAL__N_17runRingI14__hip_fp8_e5m213FuncPreMulSumIS1_E7ProtoLLLi0ELi1ELi0EEEviiP15ncclDevWorkColl.has_indirect_call, 0
	.section	.AMDGPU.csdata,"",@progbits
; Function info:
; codeLenInByte = 39164
; TotalNumSgprs: 100
; NumVgprs: 64
; ScratchSize: 276
; MemoryBound: 0
	.text
	.p2align	2                               ; -- Begin function _Z56ncclDevFunc_ReduceScatter_RING_LL_PreMulSum_f8e5m2_0_0_1v
	.type	_Z56ncclDevFunc_ReduceScatter_RING_LL_PreMulSum_f8e5m2_0_0_1v,@function
_Z56ncclDevFunc_ReduceScatter_RING_LL_PreMulSum_f8e5m2_0_0_1v: ; @_Z56ncclDevFunc_ReduceScatter_RING_LL_PreMulSum_f8e5m2_0_0_1v
; %bb.0:
	s_waitcnt vmcnt(0) expcnt(0) lgkmcnt(0)
	s_mov_b32 s4, s33
	s_mov_b32 s33, s32
	s_or_saveexec_b64 s[6:7], -1
	buffer_store_dword v43, off, s[0:3], s33 offset:16 ; 4-byte Folded Spill
	s_mov_b64 exec, s[6:7]
	v_writelane_b32 v43, s4, 20
	s_addk_i32 s32, 0x800
	buffer_store_dword v40, off, s[0:3], s33 offset:12 ; 4-byte Folded Spill
	buffer_store_dword v41, off, s[0:3], s33 offset:8 ; 4-byte Folded Spill
	;; [unrolled: 1-line block ×3, first 2 shown]
	buffer_store_dword v63, off, s[0:3], s33 ; 4-byte Folded Spill
	v_writelane_b32 v43, s34, 0
	v_writelane_b32 v43, s35, 1
	;; [unrolled: 1-line block ×20, first 2 shown]
	s_trap 2
	ds_read_b32 v0, v0
	v_mov_b32_e32 v40, v31
	v_and_b32_e32 v41, 0x3ff, v40
	s_mov_b32 s64, s12
	s_mov_b64 s[54:55], s[8:9]
	s_waitcnt lgkmcnt(0)
	v_cmp_lt_i32_e32 vcc, v41, v0
	s_and_saveexec_b64 s[4:5], vcc
	s_cbranch_execz .LBB1_5
; %bb.1:
	s_load_dword s6, s[54:55], 0x0
	v_mov_b32_e32 v1, 0
	s_mov_b32 s10, 0
	v_mov_b32_e32 v4, v41
                                        ; implicit-def: $vgpr3
	s_waitcnt lgkmcnt(0)
	s_cmp_lt_u32 s64, s6
	s_cselect_b32 s6, 12, 18
	s_add_u32 s6, s54, s6
	s_addc_u32 s7, s55, 0
	global_load_ushort v1, v1, s[6:7]
	s_trap 2
	ds_read_b32 v2, v0
	s_mov_b64 s[6:7], 0
	s_waitcnt vmcnt(0) lgkmcnt(0)
	v_mul_lo_u32 v2, v2, v1
	s_branch .LBB1_3
.LBB1_2:                                ;   in Loop: Header=BB1_3 Depth=1
	s_or_b64 exec, exec, s[8:9]
	v_add_u32_e32 v4, v4, v1
	v_cmp_ge_i32_e32 vcc, v4, v0
	s_or_b64 s[6:7], vcc, s[6:7]
	v_add_u32_e32 v3, v3, v2
	s_andn2_b64 exec, exec, s[6:7]
	s_cbranch_execz .LBB1_5
.LBB1_3:                                ; =>This Inner Loop Header: Depth=1
	ds_read_b32 v5, v3
	s_waitcnt lgkmcnt(0)
	v_and_b32_e32 v5, 0x1000000, v5
	v_cmp_ne_u32_e32 vcc, 0, v5
	s_and_saveexec_b64 s[8:9], vcc
	s_cbranch_execz .LBB1_2
; %bb.4:                                ;   in Loop: Header=BB1_3 Depth=1
	ds_read_b64 v[5:6], v3 offset:104
	s_waitcnt lgkmcnt(0)
	flat_load_ubyte v5, v[5:6]
	v_mov_b32_e32 v6, s10
	s_waitcnt vmcnt(0) lgkmcnt(0)
	v_and_b32_e32 v5, 0xffff, v5
	ds_write_b64 v3, v[5:6] offset:104
	s_branch .LBB1_2
.LBB1_5:
	s_or_b64 exec, exec, s[4:5]
	s_waitcnt vmcnt(0) lgkmcnt(0)
	s_barrier
	s_trap 2
	ds_read_b32 v0, v0
	s_waitcnt lgkmcnt(0)
	v_cmp_gt_i32_e32 vcc, 1, v0
	s_cbranch_vccnz .LBB1_13
; %bb.6:
	s_mov_b32 s65, 0
	v_mov_b32_e32 v42, 6
	s_branch .LBB1_8
.LBB1_7:                                ;   in Loop: Header=BB1_8 Depth=1
	s_or_b64 exec, exec, s[66:67]
	s_trap 2
	ds_read_b32 v0, v0
	s_add_i32 s65, s65, 1
	s_waitcnt lgkmcnt(0)
	v_cmp_lt_i32_e32 vcc, s65, v0
	s_cbranch_vccz .LBB1_13
.LBB1_8:                                ; =>This Inner Loop Header: Depth=1
	s_trap 2
	ds_read_b32 v0, v0
	s_cmp_eq_u32 s65, 0
	s_cbranch_scc1 .LBB1_11
; %bb.9:                                ;   in Loop: Header=BB1_8 Depth=1
	s_trap 2
	s_waitcnt lgkmcnt(0)
	ds_read_b32 v1, v0
	s_waitcnt lgkmcnt(0)
	v_xor_b32_e32 v1, v1, v0
	v_and_b32_e32 v1, 0xff0000, v1
	v_cmp_eq_u32_e32 vcc, 0, v1
	s_cbranch_vccnz .LBB1_11
; %bb.10:                               ;   in Loop: Header=BB1_8 Depth=1
	s_barrier
	ds_read_b32 v0, v0
.LBB1_11:                               ;   in Loop: Header=BB1_8 Depth=1
	s_waitcnt lgkmcnt(0)
	v_lshlrev_b32_sdwa v1, v42, v0 dst_sel:DWORD dst_unused:UNUSED_PAD src0_sel:DWORD src1_sel:BYTE_2
	v_cmp_lt_u32_e32 vcc, v41, v1
	s_and_saveexec_b64 s[66:67], vcc
	s_cbranch_execz .LBB1_7
; %bb.12:                               ;   in Loop: Header=BB1_8 Depth=1
	s_mov_b64 s[4:5], src_shared_base
	s_getpc_b64 s[6:7]
	s_add_u32 s6, s6, _ZN12_GLOBAL__N_17runRingI14__hip_fp8_e5m213FuncPreMulSumIS1_E7ProtoLLLi0ELi1ELi0EEEviiP15ncclDevWorkColl@rel32@lo+4
	s_addc_u32 s7, s7, _ZN12_GLOBAL__N_17runRingI14__hip_fp8_e5m213FuncPreMulSumIS1_E7ProtoLLLi0ELi1ELi0EEEviiP15ncclDevWorkColl@rel32@hi+12
	s_mov_b64 s[8:9], s[54:55]
	s_mov_b32 s12, s64
	v_mov_b32_e32 v31, v40
	v_mov_b32_e32 v0, v41
	;; [unrolled: 1-line block ×3, first 2 shown]
	s_swappc_b64 s[30:31], s[6:7]
	s_branch .LBB1_7
.LBB1_13:
	buffer_load_dword v63, off, s[0:3], s33 ; 4-byte Folded Reload
	buffer_load_dword v42, off, s[0:3], s33 offset:4 ; 4-byte Folded Reload
	buffer_load_dword v41, off, s[0:3], s33 offset:8 ; 4-byte Folded Reload
	buffer_load_dword v40, off, s[0:3], s33 offset:12 ; 4-byte Folded Reload
	v_readlane_b32 s30, v43, 18
	v_readlane_b32 s31, v43, 19
	;; [unrolled: 1-line block ×20, first 2 shown]
	s_mov_b32 s32, s33
	v_readlane_b32 s4, v43, 20
	s_or_saveexec_b64 s[6:7], -1
	buffer_load_dword v43, off, s[0:3], s33 offset:16 ; 4-byte Folded Reload
	s_mov_b64 exec, s[6:7]
	s_mov_b32 s33, s4
	s_waitcnt vmcnt(0)
	s_setpc_b64 s[30:31]
.Lfunc_end1:
	.size	_Z56ncclDevFunc_ReduceScatter_RING_LL_PreMulSum_f8e5m2_0_0_1v, .Lfunc_end1-_Z56ncclDevFunc_ReduceScatter_RING_LL_PreMulSum_f8e5m2_0_0_1v
                                        ; -- End function
	.set .L_Z56ncclDevFunc_ReduceScatter_RING_LL_PreMulSum_f8e5m2_0_0_1v.num_vgpr, max(64, .L_ZN12_GLOBAL__N_17runRingI14__hip_fp8_e5m213FuncPreMulSumIS1_E7ProtoLLLi0ELi1ELi0EEEviiP15ncclDevWorkColl.num_vgpr)
	.set .L_Z56ncclDevFunc_ReduceScatter_RING_LL_PreMulSum_f8e5m2_0_0_1v.num_agpr, max(0, .L_ZN12_GLOBAL__N_17runRingI14__hip_fp8_e5m213FuncPreMulSumIS1_E7ProtoLLLi0ELi1ELi0EEEviiP15ncclDevWorkColl.num_agpr)
	.set .L_Z56ncclDevFunc_ReduceScatter_RING_LL_PreMulSum_f8e5m2_0_0_1v.numbered_sgpr, max(68, .L_ZN12_GLOBAL__N_17runRingI14__hip_fp8_e5m213FuncPreMulSumIS1_E7ProtoLLLi0ELi1ELi0EEEviiP15ncclDevWorkColl.numbered_sgpr)
	.set .L_Z56ncclDevFunc_ReduceScatter_RING_LL_PreMulSum_f8e5m2_0_0_1v.num_named_barrier, max(0, .L_ZN12_GLOBAL__N_17runRingI14__hip_fp8_e5m213FuncPreMulSumIS1_E7ProtoLLLi0ELi1ELi0EEEviiP15ncclDevWorkColl.num_named_barrier)
	.set .L_Z56ncclDevFunc_ReduceScatter_RING_LL_PreMulSum_f8e5m2_0_0_1v.private_seg_size, 32+max(.L_ZN12_GLOBAL__N_17runRingI14__hip_fp8_e5m213FuncPreMulSumIS1_E7ProtoLLLi0ELi1ELi0EEEviiP15ncclDevWorkColl.private_seg_size)
	.set .L_Z56ncclDevFunc_ReduceScatter_RING_LL_PreMulSum_f8e5m2_0_0_1v.uses_vcc, or(1, .L_ZN12_GLOBAL__N_17runRingI14__hip_fp8_e5m213FuncPreMulSumIS1_E7ProtoLLLi0ELi1ELi0EEEviiP15ncclDevWorkColl.uses_vcc)
	.set .L_Z56ncclDevFunc_ReduceScatter_RING_LL_PreMulSum_f8e5m2_0_0_1v.uses_flat_scratch, or(0, .L_ZN12_GLOBAL__N_17runRingI14__hip_fp8_e5m213FuncPreMulSumIS1_E7ProtoLLLi0ELi1ELi0EEEviiP15ncclDevWorkColl.uses_flat_scratch)
	.set .L_Z56ncclDevFunc_ReduceScatter_RING_LL_PreMulSum_f8e5m2_0_0_1v.has_dyn_sized_stack, or(0, .L_ZN12_GLOBAL__N_17runRingI14__hip_fp8_e5m213FuncPreMulSumIS1_E7ProtoLLLi0ELi1ELi0EEEviiP15ncclDevWorkColl.has_dyn_sized_stack)
	.set .L_Z56ncclDevFunc_ReduceScatter_RING_LL_PreMulSum_f8e5m2_0_0_1v.has_recursion, or(1, .L_ZN12_GLOBAL__N_17runRingI14__hip_fp8_e5m213FuncPreMulSumIS1_E7ProtoLLLi0ELi1ELi0EEEviiP15ncclDevWorkColl.has_recursion)
	.set .L_Z56ncclDevFunc_ReduceScatter_RING_LL_PreMulSum_f8e5m2_0_0_1v.has_indirect_call, or(0, .L_ZN12_GLOBAL__N_17runRingI14__hip_fp8_e5m213FuncPreMulSumIS1_E7ProtoLLLi0ELi1ELi0EEEviiP15ncclDevWorkColl.has_indirect_call)
	.section	.AMDGPU.csdata,"",@progbits
; Function info:
; codeLenInByte = 928
; TotalNumSgprs: 100
; NumVgprs: 64
; ScratchSize: 308
; MemoryBound: 0
	.text
	.p2align	2                               ; -- Begin function _ZN12_GLOBAL__N_17runRingI14__hip_fp8_e5m213FuncPreMulSumIS1_E7ProtoLLLi0ELi2ELi0EEEviiP15ncclDevWorkColl
	.type	_ZN12_GLOBAL__N_17runRingI14__hip_fp8_e5m213FuncPreMulSumIS1_E7ProtoLLLi0ELi2ELi0EEEviiP15ncclDevWorkColl,@function
_ZN12_GLOBAL__N_17runRingI14__hip_fp8_e5m213FuncPreMulSumIS1_E7ProtoLLLi0ELi2ELi0EEEviiP15ncclDevWorkColl: ; @_ZN12_GLOBAL__N_17runRingI14__hip_fp8_e5m213FuncPreMulSumIS1_E7ProtoLLLi0ELi2ELi0EEEviiP15ncclDevWorkColl
; %bb.0:
	s_waitcnt vmcnt(0) expcnt(0) lgkmcnt(0)
	s_or_saveexec_b64 s[4:5], -1
	buffer_store_dword v63, off, s[0:3], s32 offset:268 ; 4-byte Folded Spill
	s_mov_b64 exec, s[4:5]
	buffer_store_dword v40, off, s[0:3], s32 offset:56 ; 4-byte Folded Spill
	buffer_store_dword v41, off, s[0:3], s32 offset:52 ; 4-byte Folded Spill
	;; [unrolled: 1-line block ×14, first 2 shown]
	buffer_store_dword v62, off, s[0:3], s32 ; 4-byte Folded Spill
	v_writelane_b32 v63, s34, 0
	v_writelane_b32 v63, s35, 1
	;; [unrolled: 1-line block ×14, first 2 shown]
	s_trap 2
	flat_load_dword v6, v[2:3]
	flat_load_dwordx4 v[24:27], v[2:3] offset:72
	flat_load_dwordx2 v[17:18], v[2:3] offset:88
	v_mov_b32_e32 v10, v0
	ds_read_b32 v4, v0
	s_waitcnt lgkmcnt(0)
	v_readfirstlane_b32 s20, v4
	s_waitcnt vmcnt(0)
	v_not_b32_sdwa v5, v6 dst_sel:DWORD dst_unused:UNUSED_PAD src0_sel:BYTE_0
	v_add_u32_sdwa v0, v6, v5 dst_sel:DWORD dst_unused:UNUSED_PAD src0_sel:BYTE_1 src1_sel:DWORD
	v_ashrrev_i32_e32 v7, 31, v0
	v_mul_lo_u32 v8, v27, v0
	v_mad_u64_u32 v[19:20], s[4:5], v26, v0, 0
	v_mul_lo_u32 v0, v26, v7
	v_cmp_ne_u32_sdwa s[4:5], v4, v6 src0_sel:DWORD src1_sel:BYTE_0
	ds_read_b64 v[60:61], v0
	v_add3_u32 v0, v20, v0, v8
                                        ; implicit-def: $vgpr20_vgpr21
                                        ; implicit-def: $vgpr7_vgpr8
                                        ; kill: killed $vgpr7_vgpr8
	s_and_saveexec_b64 s[6:7], s[4:5]
	s_xor_b64 s[4:5], exec, s[6:7]
	s_cbranch_execz .LBB2_6
; %bb.1:
	v_cmp_ne_u32_sdwa s[6:7], v4, v6 src0_sel:DWORD src1_sel:BYTE_1
                                        ; implicit-def: $vgpr20_vgpr21
                                        ; implicit-def: $vgpr6_vgpr7
                                        ; kill: killed $vgpr6_vgpr7
	s_and_saveexec_b64 s[10:11], s[6:7]
	s_xor_b64 s[6:7], exec, s[10:11]
	s_cbranch_execz .LBB2_3
; %bb.2:
	flat_load_dwordx2 v[6:7], v[2:3] offset:96
	v_add_u32_e32 v4, v4, v5
	v_ashrrev_i32_e32 v5, 31, v4
	v_mul_lo_u32 v5, v26, v5
	v_mul_lo_u32 v8, v27, v4
	v_mad_u64_u32 v[11:12], s[10:11], v26, v4, v[24:25]
	v_add3_u32 v12, v8, v12, v5
	buffer_store_dword v11, off, s[0:3], s32 offset:156 ; 4-byte Folded Spill
	s_nop 0
	buffer_store_dword v12, off, s[0:3], s32 offset:160 ; 4-byte Folded Spill
	s_waitcnt vmcnt(0) lgkmcnt(0)
	v_lshrrev_b64 v[20:21], 17, v[6:7]
.LBB2_3:
	s_andn2_saveexec_b64 s[6:7], s[6:7]
	s_cbranch_execz .LBB2_5
; %bb.4:
	flat_load_dword v4, v[2:3] offset:100
	v_add_co_u32_e32 v5, vcc, v19, v24
	v_mov_b32_e32 v27, v18
	v_addc_co_u32_e32 v6, vcc, v0, v25, vcc
	v_mov_b32_e32 v26, v17
	buffer_store_dword v5, off, s[0:3], s32 offset:156 ; 4-byte Folded Spill
	s_nop 0
	buffer_store_dword v6, off, s[0:3], s32 offset:160 ; 4-byte Folded Spill
	s_waitcnt vmcnt(0) lgkmcnt(0)
	v_lshrrev_b32_e32 v20, 6, v4
.LBB2_5:
	s_or_b64 exec, exec, s[6:7]
.LBB2_6:
	s_andn2_saveexec_b64 s[4:5], s[4:5]
	s_cbranch_execz .LBB2_8
; %bb.7:
	flat_load_dwordx2 v[4:5], v[2:3] offset:96
	v_mov_b32_e32 v27, v25
	v_mov_b32_e32 v26, v24
	s_waitcnt vmcnt(0) lgkmcnt(0)
	v_lshlrev_b64 v[20:21], 4, v[4:5]
	v_mov_b32_e32 v4, 0
	v_mov_b32_e32 v5, 0
	buffer_store_dword v4, off, s[0:3], s32 offset:156 ; 4-byte Folded Spill
	s_nop 0
	buffer_store_dword v5, off, s[0:3], s32 offset:160 ; 4-byte Folded Spill
.LBB2_8:
	s_or_b64 exec, exec, s[4:5]
	flat_load_dwordx4 v[4:7], v[2:3] offset:16
	s_mov_b32 s13, 0
	v_mov_b32_e32 v62, 0
	s_waitcnt vmcnt(0) lgkmcnt(0)
	buffer_store_dword v4, off, s[0:3], s32 offset:204 ; 4-byte Folded Spill
	s_nop 0
	buffer_store_dword v5, off, s[0:3], s32 offset:208 ; 4-byte Folded Spill
	buffer_store_dword v6, off, s[0:3], s32 offset:212 ; 4-byte Folded Spill
	;; [unrolled: 1-line block ×3, first 2 shown]
	flat_load_dwordx2 v[15:16], v[2:3] offset:104
	flat_load_ushort v14, v[2:3] offset:8
	flat_load_dword v13, v[2:3] offset:4
	v_mov_b32_e32 v2, 0
	s_waitcnt vmcnt(0) lgkmcnt(0)
	v_cmp_ne_u16_sdwa s[6:7], v15, v2 src0_sel:BYTE_0 src1_sel:DWORD
	s_and_saveexec_b64 s[4:5], s[6:7]
	s_cbranch_execz .LBB2_16
; %bb.9:
	v_bfe_i32 v3, v15, 0, 8
	s_movk_i32 s6, 0xff80
	v_cmp_ne_u16_e32 vcc, s6, v3
	v_bfrev_b32_e32 v62, 1
	s_and_saveexec_b64 s[6:7], vcc
	s_cbranch_execz .LBB2_15
; %bb.10:
	s_movk_i32 s10, 0x7c
	v_and_b32_e32 v5, 0x7c, v15
	v_and_b32_e32 v4, 3, v15
	v_cmp_ne_u32_e32 vcc, s10, v5
                                        ; implicit-def: $vgpr62
	s_and_saveexec_b64 s[10:11], vcc
	s_xor_b64 s[10:11], exec, s[10:11]
	s_cbranch_execz .LBB2_12
; %bb.11:
	v_ffbh_u32_e32 v5, v4
	v_min_u32_e32 v8, 32, v5
	v_subrev_u32_e32 v5, 29, v8
	v_bfe_u32 v7, v15, 2, 5
	v_lshlrev_b64 v[5:6], v5, v[15:16]
	v_sub_u32_e32 v6, 30, v8
	v_cmp_eq_u32_e32 vcc, 0, v7
	s_brev_b32 s14, 1
	v_and_b32_e32 v5, 3, v5
	v_cndmask_b32_e32 v6, v7, v6, vcc
	v_and_b32_sdwa v3, sext(v3), s14 dst_sel:DWORD dst_unused:UNUSED_PAD src0_sel:WORD_0 src1_sel:DWORD
	v_cndmask_b32_e32 v4, v4, v5, vcc
	v_lshl_add_u32 v3, v6, 23, v3
	v_lshl_or_b32 v3, v4, 21, v3
	v_add_u32_e32 v62, 0x38000000, v3
                                        ; implicit-def: $vgpr4
                                        ; implicit-def: $vgpr3
.LBB2_12:
	s_andn2_saveexec_b64 s[10:11], s[10:11]
; %bb.13:
	v_mov_b32_e32 v5, 0xff800000
	v_mov_b32_e32 v6, 0x7f800000
	v_cmp_lt_i16_e32 vcc, -1, v3
	v_cndmask_b32_e32 v3, v5, v6, vcc
	v_mov_b32_e32 v5, 0x7f800001
	v_cmp_eq_u32_e32 vcc, 0, v4
	v_cndmask_b32_e32 v62, v5, v3, vcc
; %bb.14:
	s_or_b64 exec, exec, s[10:11]
.LBB2_15:
	s_or_b64 exec, exec, s[6:7]
.LBB2_16:
	s_or_b64 exec, exec, s[4:5]
	s_load_dword s4, s[8:9], 0x0
	v_lshrrev_b64 v[3:4], 31, v[13:14]
	v_and_b32_e32 v4, 63, v10
	v_mov_b32_e32 v8, 0
	v_and_b32_e32 v5, 3, v3
	s_waitcnt lgkmcnt(0)
	s_cmp_lt_u32 s12, s4
	s_cselect_b32 s4, 12, 18
	s_add_u32 s4, s8, s4
	s_addc_u32 s5, s9, 0
	global_load_ushort v11, v2, s[4:5]
	s_trap 2
	ds_read_b32 v2, v0
	v_mov_b32_e32 v9, 0
	v_cmp_eq_u32_e64 s[4:5], 0, v4
	s_waitcnt lgkmcnt(0)
	v_cmp_gt_i32_e32 vcc, 0, v2
	v_readfirstlane_b32 s8, v2
	s_cbranch_vccnz .LBB2_18
; %bb.17:
	s_trap 2
	ds_read_b64 v[6:7], v0
	v_mov_b32_e32 v3, 0
	v_lshlrev_b64 v[2:3], 3, v[2:3]
	s_movk_i32 s6, 0xa8
	s_mov_b32 s13, 1
	s_waitcnt lgkmcnt(0)
	v_add_co_u32_e32 v2, vcc, v6, v2
	v_addc_co_u32_e32 v3, vcc, v7, v3, vcc
	flat_load_dwordx2 v[2:3], v[2:3]
	v_and_b32_e32 v6, 0xffff, v5
	s_waitcnt vmcnt(0) lgkmcnt(0)
	v_mad_u64_u32 v[2:3], s[6:7], v6, s6, v[2:3]
	flat_load_dwordx2 v[6:7], v[2:3] offset:504
	v_add_co_u32_e32 v28, vcc, 0x1f8, v2
	v_addc_co_u32_e32 v29, vcc, 0, v3, vcc
	s_waitcnt vmcnt(0) lgkmcnt(0)
	buffer_store_dword v6, off, s[0:3], s32 offset:104 ; 4-byte Folded Spill
	s_nop 0
	buffer_store_dword v7, off, s[0:3], s32 offset:108 ; 4-byte Folded Spill
	flat_load_dwordx2 v[34:35], v[2:3] offset:608
	v_cndmask_b32_e64 v3, 0, v29, s[4:5]
	v_cndmask_b32_e64 v2, 0, v28, s[4:5]
	s_branch .LBB2_19
.LBB2_18:
	v_mov_b32_e32 v28, 0
	v_mov_b32_e32 v2, 0
	;; [unrolled: 1-line block ×4, first 2 shown]
                                        ; implicit-def: $vgpr34_vgpr35
                                        ; implicit-def: $vgpr6_vgpr7
                                        ; kill: killed $vgpr6_vgpr7
.LBB2_19:
	s_trap 2
	ds_read_b32 v13, v0
	s_waitcnt lgkmcnt(0)
	v_cmp_gt_i32_e32 vcc, 0, v13
	s_cbranch_vccnz .LBB2_21
; %bb.20:
	s_trap 2
	ds_read_b64 v[6:7], v0
	v_mov_b32_e32 v14, 0
	v_lshlrev_b64 v[8:9], 3, v[13:14]
	v_and_b32_e32 v5, 0xffff, v5
	s_movk_i32 s4, 0xa8
	s_waitcnt lgkmcnt(0)
	v_add_co_u32_e32 v6, vcc, v6, v8
	v_addc_co_u32_e32 v7, vcc, v7, v9, vcc
	flat_load_dwordx2 v[6:7], v[6:7]
	v_cmp_eq_u32_e32 vcc, 0, v4
	s_waitcnt vmcnt(0) lgkmcnt(0)
	v_mad_u64_u32 v[8:9], s[4:5], v5, s4, v[6:7]
	flat_load_dwordx2 v[5:6], v[8:9]
	v_cndmask_b32_e32 v16, 0, v9, vcc
	v_cndmask_b32_e32 v15, 0, v8, vcc
	s_waitcnt vmcnt(0) lgkmcnt(0)
	buffer_store_dword v5, off, s[0:3], s32 offset:76 ; 4-byte Folded Spill
	s_nop 0
	buffer_store_dword v6, off, s[0:3], s32 offset:80 ; 4-byte Folded Spill
	flat_load_dwordx2 v[21:22], v[8:9] offset:104
	s_branch .LBB2_22
.LBB2_21:
	v_mov_b32_e32 v15, 0
	v_mov_b32_e32 v16, 0
                                        ; implicit-def: $vgpr21_vgpr22
                                        ; implicit-def: $vgpr5_vgpr6
                                        ; kill: killed $vgpr5_vgpr6
.LBB2_22:
	v_subrev_u32_e32 v5, 64, v1
	v_cmp_ge_i32_e32 vcc, v10, v5
	v_cmp_gt_u32_e64 s[4:5], s13, v4
	v_mov_b32_e32 v13, 0
	v_mov_b32_e32 v4, 0
	;; [unrolled: 1-line block ×4, first 2 shown]
	s_and_b64 s[22:23], vcc, s[4:5]
	buffer_store_dword v4, off, s[0:3], s32 offset:96 ; 4-byte Folded Spill
	s_nop 0
	buffer_store_dword v5, off, s[0:3], s32 offset:100 ; 4-byte Folded Spill
                                        ; implicit-def: $vgpr43_vgpr44
	s_and_saveexec_b64 s[4:5], s[22:23]
	s_cbranch_execz .LBB2_24
; %bb.23:
	flat_load_dwordx2 v[4:5], v[2:3] offset:56
	s_waitcnt vmcnt(0) lgkmcnt(0)
	buffer_store_dword v4, off, s[0:3], s32 offset:96 ; 4-byte Folded Spill
	s_nop 0
	buffer_store_dword v5, off, s[0:3], s32 offset:100 ; 4-byte Folded Spill
	flat_load_dwordx2 v[43:44], v[2:3] offset:104
.LBB2_24:
	s_or_b64 exec, exec, s[4:5]
	v_mov_b32_e32 v50, 0
	v_mov_b32_e32 v51, 0
	v_cmp_gt_u32_e64 s[4:5], s13, v10
                                        ; implicit-def: $vgpr52_vgpr53
	s_and_saveexec_b64 s[6:7], s[4:5]
	s_cbranch_execz .LBB2_26
; %bb.25:
	flat_load_dwordx2 v[50:51], v[15:16] offset:56
	s_waitcnt vmcnt(0) lgkmcnt(0)
	flat_load_dwordx2 v[52:53], v[50:51] glc
	s_waitcnt vmcnt(0)
	flat_load_dwordx4 v[13:16], v[15:16] offset:96
.LBB2_26:
	s_or_b64 exec, exec, s[6:7]
	v_mov_b32_e32 v40, 0
	v_cmp_ne_u64_e32 vcc, 0, v[26:27]
	v_mov_b32_e32 v41, 0
	s_and_saveexec_b64 s[24:25], vcc
	s_cbranch_execnz .LBB2_30
; %bb.27:
	s_or_b64 exec, exec, s[24:25]
	s_and_saveexec_b64 s[6:7], s[22:23]
	s_cbranch_execnz .LBB2_1469
.LBB2_28:
	s_or_b64 exec, exec, s[6:7]
	s_and_saveexec_b64 s[6:7], s[4:5]
	s_cbranch_execnz .LBB2_1470
.LBB2_29:
	s_or_b64 exec, exec, s[6:7]
	v_cmp_ne_u32_e32 vcc, 64, v1
	s_and_saveexec_b64 s[4:5], vcc
	s_cbranch_execnz .LBB2_1471
	s_branch .LBB2_1488
.LBB2_30:
	v_add_co_u32_e32 v2, vcc, v17, v24
	s_ashr_i32 s6, s8, 31
	v_addc_co_u32_e32 v4, vcc, v18, v25, vcc
	s_lshr_b32 s6, s6, 29
	v_add_co_u32_e32 v2, vcc, v2, v19
	s_ashr_i32 s21, s20, 31
	s_add_i32 s8, s8, s6
	v_addc_co_u32_e32 v0, vcc, v4, v0, vcc
	s_lshl_b64 s[6:7], s[20:21], 2
	buffer_store_dword v28, off, s[0:3], s32 offset:260 ; 4-byte Folded Spill
	s_nop 0
	buffer_store_dword v29, off, s[0:3], s32 offset:264 ; 4-byte Folded Spill
	buffer_store_dword v8, off, s[0:3], s32 offset:252 ; 4-byte Folded Spill
	s_nop 0
	buffer_store_dword v9, off, s[0:3], s32 offset:256 ; 4-byte Folded Spill
	buffer_store_dword v2, off, s[0:3], s32 offset:88 ; 4-byte Folded Spill
	;; [unrolled: 1-line block ×3, first 2 shown]
	v_mov_b32_e32 v0, s7
	v_add_co_u32_e32 v2, vcc, s6, v60
	v_addc_co_u32_e32 v0, vcc, v61, v0, vcc
	v_add_co_u32_e32 v4, vcc, -4, v2
	v_addc_co_u32_e32 v5, vcc, -1, v0, vcc
	v_and_b32_e32 v0, 63, v31
	v_cmp_eq_u32_e64 s[12:13], 0, v0
	v_lshrrev_b32_e32 v0, 6, v1
	buffer_store_dword v4, off, s[0:3], s32 offset:188 ; 4-byte Folded Spill
	s_nop 0
	buffer_store_dword v5, off, s[0:3], s32 offset:192 ; 4-byte Folded Spill
	s_waitcnt vmcnt(0)
	buffer_store_dword v11, off, s[0:3], s32 offset:248 ; 4-byte Folded Spill
	buffer_store_dword v31, off, s[0:3], s32 offset:244 ; 4-byte Folded Spill
	;; [unrolled: 1-line block ×3, first 2 shown]
	buffer_load_dword v4, off, s[0:3], s32 offset:204 ; 4-byte Folded Reload
	buffer_load_dword v5, off, s[0:3], s32 offset:208 ; 4-byte Folded Reload
	;; [unrolled: 1-line block ×4, first 2 shown]
	v_cmp_ne_u32_sdwa s[40:41], v1, v11 src0_sel:DWORD src1_sel:WORD_0
	v_lshlrev_b32_e32 v11, 3, v10
	s_ashr_i32 s10, s8, 3
	s_and_b32 s21, s10, -16
	v_cmp_ne_u32_e64 s[10:11], 64, v1
	v_lshlrev_b32_e32 v25, 3, v1
	v_mov_b32_e32 v3, 0
	s_ashr_i32 s36, s8, 7
	v_cmp_ne_u64_e64 s[6:7], 0, v[50:51]
	s_waitcnt lgkmcnt(0)
	v_cmp_ne_u64_e64 s[8:9], 0, v[13:14]
	s_cmp_gt_i32 s20, 2
	s_mov_b32 s46, -1
	v_mov_b32_e32 v58, 0
	v_mov_b32_e32 v40, 0
	;; [unrolled: 1-line block ×3, first 2 shown]
	v_and_b32_e32 v28, 0x1fffff0, v20
	s_mov_b32 s27, 0
	v_mov_b32_e32 v29, v3
	s_mov_b64 s[28:29], 0
	s_cselect_b64 s[42:43], -1, 0
	s_mov_b64 s[44:45], 0x7ffffff8
	s_movk_i32 s37, 0xff
	s_movk_i32 s38, 0xff80
	;; [unrolled: 1-line block ×3, first 2 shown]
	s_mov_b32 s47, 0xffffff
	s_mov_b64 s[56:57], 0x7f800000
	s_movk_i32 s48, 0x80
	s_mov_b64 s[58:59], 0x47600001
	s_movk_i32 s49, 0x72
	;; [unrolled: 2-line block ×3, first 2 shown]
	s_mov_b32 s51, 0x7c0000
	s_brev_b32 s52, 62
	v_mov_b32_e32 v54, 0x7f800000
	v_mov_b32_e32 v55, 0x7f800001
	;; [unrolled: 1-line block ×4, first 2 shown]
	v_bfrev_b32_e32 v49, 0.5
	v_mov_b32_e32 v59, 0
	v_mov_b32_e32 v41, 0
	v_mov_b32_e32 v18, v27
	s_waitcnt vmcnt(1)
	v_add_co_u32_e32 v0, vcc, v6, v11
	buffer_store_dword v0, off, s[0:3], s32 offset:220 ; 4-byte Folded Spill
	s_waitcnt vmcnt(1)
	v_addc_co_u32_e32 v0, vcc, 0, v7, vcc
	buffer_store_dword v0, off, s[0:3], s32 offset:224 ; 4-byte Folded Spill
	v_add_co_u32_e32 v0, vcc, v4, v11
	buffer_load_dword v8, off, s[0:3], s32 offset:96 ; 4-byte Folded Reload
	buffer_load_dword v9, off, s[0:3], s32 offset:100 ; 4-byte Folded Reload
	s_waitcnt vmcnt(0)
	v_cmp_ne_u64_e64 s[14:15], 0, v[8:9]
	buffer_store_dword v0, off, s[0:3], s32 offset:228 ; 4-byte Folded Spill
	v_addc_co_u32_e32 v0, vcc, 0, v5, vcc
	buffer_store_dword v0, off, s[0:3], s32 offset:232 ; 4-byte Folded Spill
	buffer_load_dword v4, off, s[0:3], s32 offset:156 ; 4-byte Folded Reload
	buffer_load_dword v5, off, s[0:3], s32 offset:160 ; 4-byte Folded Reload
	v_mov_b32_e32 v8, 0xff800000
	buffer_store_dword v11, off, s[0:3], s32 offset:152 ; 4-byte Folded Spill
	v_mov_b32_e32 v9, 0
	s_waitcnt vmcnt(2)
	v_add_co_u32_e32 v0, vcc, v4, v6
	s_waitcnt vmcnt(1)
	v_addc_co_u32_e32 v2, vcc, v5, v7, vcc
	v_add_co_u32_e32 v4, vcc, v0, v11
	v_addc_co_u32_e32 v5, vcc, 0, v2, vcc
	v_lshlrev_b32_e32 v0, 6, v1
	buffer_store_dword v4, off, s[0:3], s32 offset:136 ; 4-byte Folded Spill
	s_nop 0
	buffer_store_dword v5, off, s[0:3], s32 offset:140 ; 4-byte Folded Spill
	buffer_store_dword v0, off, s[0:3], s32 offset:84 ; 4-byte Folded Spill
	v_mov_b32_e32 v0, v10
	buffer_store_dword v0, off, s[0:3], s32 offset:60 ; 4-byte Folded Spill
	s_nop 0
	buffer_store_dword v1, off, s[0:3], s32 offset:64 ; 4-byte Folded Spill
	buffer_load_dword v6, off, s[0:3], s32 offset:76 ; 4-byte Folded Reload
	buffer_load_dword v7, off, s[0:3], s32 offset:80 ; 4-byte Folded Reload
	v_mov_b32_e32 v11, v3
	v_lshlrev_b64 v[4:5], 4, v[10:11]
	v_mov_b32_e32 v2, v3
	v_mov_b32_e32 v11, 0x7c
	s_waitcnt vmcnt(1)
	v_add_co_u32_e32 v0, vcc, v6, v4
	buffer_store_dword v0, off, s[0:3], s32 offset:236 ; 4-byte Folded Spill
	s_waitcnt vmcnt(1)
	v_addc_co_u32_e32 v0, vcc, v7, v5, vcc
	v_lshlrev_b64 v[5:6], 4, v[1:2]
	v_mov_b32_e32 v7, -1
	buffer_store_dword v0, off, s[0:3], s32 offset:240 ; 4-byte Folded Spill
	buffer_store_dword v15, off, s[0:3], s32 offset:164 ; 4-byte Folded Spill
	s_nop 0
	buffer_store_dword v16, off, s[0:3], s32 offset:168 ; 4-byte Folded Spill
	buffer_store_dword v17, off, s[0:3], s32 offset:172 ; 4-byte Folded Spill
	;; [unrolled: 1-line block ×4, first 2 shown]
	s_nop 0
	buffer_store_dword v29, off, s[0:3], s32 offset:184 ; 4-byte Folded Spill
	buffer_store_dword v60, off, s[0:3], s32 offset:120 ; 4-byte Folded Spill
	s_nop 0
	buffer_store_dword v61, off, s[0:3], s32 offset:124 ; 4-byte Folded Spill
	s_branch .LBB2_32
.LBB2_31:                               ;   in Loop: Header=BB2_32 Depth=1
	s_or_b64 exec, exec, s[16:17]
	buffer_load_dword v17, off, s[0:3], s32 offset:136 ; 4-byte Folded Reload
	buffer_load_dword v18, off, s[0:3], s32 offset:140 ; 4-byte Folded Reload
	v_add_co_u32_e32 v34, vcc, 1, v34
	v_addc_co_u32_e32 v35, vcc, 0, v35, vcc
	v_add_co_u32_e32 v58, vcc, v58, v28
	v_addc_co_u32_e32 v59, vcc, 0, v59, vcc
	s_waitcnt vmcnt(0)
	v_add_co_u32_e32 v17, vcc, v17, v28
	v_addc_co_u32_e32 v18, vcc, 0, v18, vcc
	v_cmp_ge_u64_e32 vcc, v[58:59], v[26:27]
	buffer_store_dword v17, off, s[0:3], s32 offset:136 ; 4-byte Folded Spill
	s_nop 0
	buffer_store_dword v18, off, s[0:3], s32 offset:140 ; 4-byte Folded Spill
	s_or_b64 s[28:29], vcc, s[28:29]
	s_andn2_b64 exec, exec, s[28:29]
	s_cbranch_execz .LBB2_1468
.LBB2_32:                               ; =>This Loop Header: Depth=1
                                        ;     Child Loop BB2_37 Depth 2
                                        ;     Child Loop BB2_56 Depth 2
	;; [unrolled: 1-line block ×5, first 2 shown]
                                        ;       Child Loop BB2_310 Depth 3
                                        ;       Child Loop BB2_329 Depth 3
	;; [unrolled: 1-line block ×3, first 2 shown]
                                        ;         Child Loop BB2_358 Depth 4
                                        ;       Child Loop BB2_885 Depth 3
                                        ;       Child Loop BB2_346 Depth 3
                                        ;     Child Loop BB2_900 Depth 2
                                        ;       Child Loop BB2_908 Depth 3
                                        ;     Child Loop BB2_1455 Depth 2
	buffer_load_dword v17, off, s[0:3], s32 offset:188 ; 4-byte Folded Reload
	buffer_load_dword v18, off, s[0:3], s32 offset:192 ; 4-byte Folded Reload
	s_waitcnt vmcnt(0) lgkmcnt(0)
	flat_load_dword v0, v[17:18]
	v_sub_co_u32_e32 v17, vcc, v26, v58
	v_subb_co_u32_e32 v18, vcc, v27, v59, vcc
	v_cmp_lt_u64_e32 vcc, v[28:29], v[17:18]
	v_cndmask_b32_e32 v4, v17, v28, vcc
	v_lshl_add_u32 v2, v4, 1, 14
	v_and_b32_e32 v2, 0x7fffff0, v2
	buffer_store_dword v2, off, s[0:3], s32 offset:128 ; 4-byte Folded Spill
	s_and_saveexec_b64 s[18:19], s[6:7]
	s_cbranch_execz .LBB2_48
; %bb.33:                               ;   in Loop: Header=BB2_32 Depth=1
	v_add_co_u32_e32 v17, vcc, 1, v15
	v_addc_co_u32_e32 v18, vcc, 0, v16, vcc
	v_add_co_u32_e32 v19, vcc, 8, v52
	v_addc_co_u32_e32 v20, vcc, 0, v53, vcc
	v_cmp_lt_u64_e32 vcc, v[19:20], v[17:18]
	s_and_saveexec_b64 s[62:63], vcc
	s_cbranch_execz .LBB2_45
; %bb.34:                               ;   in Loop: Header=BB2_32 Depth=1
	s_mov_b32 s26, 0
	v_cmp_eq_u32_e32 vcc, 0, v9
	s_mov_b64 s[72:73], 0
                                        ; implicit-def: $sgpr74_sgpr75
                                        ; implicit-def: $sgpr76_sgpr77
                                        ; implicit-def: $sgpr78_sgpr79
	s_branch .LBB2_37
.LBB2_35:                               ;   in Loop: Header=BB2_37 Depth=2
	s_or_b64 exec, exec, s[30:31]
	s_andn2_b64 s[16:17], s[78:79], exec
	s_and_b64 s[78:79], s[92:93], exec
	s_or_b64 s[78:79], s[16:17], s[78:79]
	s_andn2_b64 s[16:17], s[76:77], exec
	s_and_b64 s[76:77], s[90:91], exec
	s_or_b64 s[76:77], s[16:17], s[76:77]
.LBB2_36:                               ;   in Loop: Header=BB2_37 Depth=2
	s_or_b64 exec, exec, s[88:89]
	s_and_b64 s[16:17], exec, s[76:77]
	s_or_b64 s[72:73], s[16:17], s[72:73]
	s_andn2_b64 s[16:17], s[74:75], exec
	s_and_b64 s[74:75], s[78:79], exec
	s_or_b64 s[74:75], s[16:17], s[74:75]
	s_andn2_b64 exec, exec, s[72:73]
	s_cbranch_execz .LBB2_42
.LBB2_37:                               ;   Parent Loop BB2_32 Depth=1
                                        ; =>  This Inner Loop Header: Depth=2
	s_sleep 1
	s_waitcnt vmcnt(0) lgkmcnt(0)
	flat_load_dwordx2 v[52:53], v[50:51] glc
	v_mov_b32_e32 v9, 1
	s_or_b64 s[78:79], s[78:79], exec
	s_or_b64 s[76:77], s[76:77], exec
                                        ; implicit-def: $vgpr2
	s_and_saveexec_b64 s[88:89], vcc
	s_cbranch_execz .LBB2_36
; %bb.38:                               ;   in Loop: Header=BB2_37 Depth=2
	s_add_i32 s26, s26, 1
	s_cmpk_lg_i32 s26, 0x2710
	s_cselect_b64 s[94:95], -1, 0
	s_cmpk_eq_i32 s26, 0x2710
	s_mov_b64 s[90:91], -1
	s_mov_b64 s[92:93], -1
                                        ; implicit-def: $vgpr2
	s_cbranch_scc1 .LBB2_40
; %bb.39:                               ;   in Loop: Header=BB2_37 Depth=2
	v_mov_b32_e32 v9, 1
	s_and_saveexec_b64 s[30:31], s[94:95]
	s_cbranch_execz .LBB2_35
	s_branch .LBB2_41
.LBB2_40:                               ;   in Loop: Header=BB2_37 Depth=2
	s_trap 2
	s_waitcnt vmcnt(0) lgkmcnt(0)
	ds_read_b64 v[9:10], v0
	s_andn2_b64 s[94:95], s[94:95], exec
	s_mov_b32 s26, 0
	s_mov_b64 s[92:93], 0
	s_waitcnt lgkmcnt(0)
	flat_load_dword v2, v[9:10] glc
	s_waitcnt vmcnt(0) lgkmcnt(0)
	buffer_wbinvl1_vol
	v_cmp_eq_u32_e64 s[16:17], 0, v2
	s_and_b64 s[16:17], s[16:17], exec
	s_or_b64 s[94:95], s[94:95], s[16:17]
	v_mov_b32_e32 v9, 1
	s_and_saveexec_b64 s[30:31], s[94:95]
	s_cbranch_execz .LBB2_35
.LBB2_41:                               ;   in Loop: Header=BB2_37 Depth=2
	s_waitcnt vmcnt(0) lgkmcnt(0)
	v_add_co_u32_e64 v9, s[16:17], 8, v52
	v_addc_co_u32_e64 v10, s[16:17], 0, v53, s[16:17]
	v_cmp_ge_u64_e64 s[16:17], v[9:10], v[17:18]
	v_mov_b32_e32 v9, 0
	s_or_b64 s[92:93], s[92:93], exec
	s_orn2_b64 s[90:91], s[16:17], exec
	s_branch .LBB2_35
.LBB2_42:                               ;   in Loop: Header=BB2_32 Depth=1
	s_or_b64 exec, exec, s[72:73]
	s_xor_b64 s[16:17], s[74:75], -1
	s_and_saveexec_b64 s[72:73], s[16:17]
	s_xor_b64 s[16:17], exec, s[72:73]
	s_cbranch_execz .LBB2_44
; %bb.43:                               ;   in Loop: Header=BB2_32 Depth=1
	v_mov_b32_e32 v9, 1
	s_waitcnt vmcnt(0) lgkmcnt(0)
	ds_write_b32 v0, v2
	s_trap 2
.LBB2_44:                               ;   in Loop: Header=BB2_32 Depth=1
	s_or_b64 exec, exec, s[16:17]
.LBB2_45:                               ;   in Loop: Header=BB2_32 Depth=1
	s_or_b64 exec, exec, s[62:63]
	s_and_saveexec_b64 s[16:17], s[8:9]
	s_cbranch_execz .LBB2_47
; %bb.46:                               ;   in Loop: Header=BB2_32 Depth=1
	v_and_b32_e32 v2, 0x7ffffff8, v15
	v_cmp_eq_u64_e32 vcc, s[44:45], v[2:3]
	buffer_load_dword v2, off, s[0:3], s32 offset:128 ; 4-byte Folded Reload
	v_and_b32_e32 v10, 7, v15
	v_mad_u64_u32 v[15:16], s[62:63], v10, 24, v[13:14]
	v_mov_b32_e32 v10, s21
	s_waitcnt vmcnt(0)
	v_cndmask_b32_e32 v19, v2, v10, vcc
	v_ashrrev_i32_e32 v20, 31, v19
	flat_store_dwordx2 v[15:16], v[19:20] offset:8
	s_waitcnt vmcnt(0)
.LBB2_47:                               ;   in Loop: Header=BB2_32 Depth=1
	s_or_b64 exec, exec, s[16:17]
	v_mov_b32_e32 v15, v17
	v_mov_b32_e32 v16, v18
.LBB2_48:                               ;   in Loop: Header=BB2_32 Depth=1
	s_or_b64 exec, exec, s[18:19]
	s_and_saveexec_b64 s[16:17], s[10:11]
	s_cbranch_execz .LBB2_67
; %bb.49:                               ;   in Loop: Header=BB2_32 Depth=1
	s_and_saveexec_b64 s[18:19], s[40:41]
	s_xor_b64 s[18:19], exec, s[18:19]
	s_cbranch_execz .LBB2_64
; %bb.50:                               ;   in Loop: Header=BB2_32 Depth=1
	s_and_saveexec_b64 s[62:63], s[12:13]
	s_cbranch_execz .LBB2_63
; %bb.51:                               ;   in Loop: Header=BB2_32 Depth=1
	s_mov_b64 s[74:75], exec
	v_mbcnt_lo_u32_b32 v2, s74, 0
	v_mbcnt_hi_u32_b32 v2, s75, v2
	v_cmp_eq_u32_e32 vcc, 0, v2
	s_waitcnt vmcnt(0) lgkmcnt(0)
	buffer_wbinvl1_vol
	s_and_saveexec_b64 s[72:73], vcc
	s_cbranch_execz .LBB2_53
; %bb.52:                               ;   in Loop: Header=BB2_32 Depth=1
	s_bcnt1_i32_b64 s26, s[74:75]
	v_mov_b32_e32 v2, s26
	ds_add_u64 v0, v[2:3]
	s_trap 2
.LBB2_53:                               ;   in Loop: Header=BB2_32 Depth=1
	s_or_b64 exec, exec, s[72:73]
	s_trap 2
	ds_read_b64 v[17:18], v0
	s_waitcnt lgkmcnt(0)
	buffer_load_dword v2, off, s[0:3], s32 offset:132 ; 4-byte Folded Reload
	s_waitcnt vmcnt(0)
	v_add_co_u32_e32 v40, vcc, v40, v2
	v_addc_co_u32_e32 v41, vcc, 0, v41, vcc
	v_cmp_lt_u64_e32 vcc, v[17:18], v[40:41]
	s_and_saveexec_b64 s[72:73], vcc
	s_cbranch_execz .LBB2_62
; %bb.54:                               ;   in Loop: Header=BB2_32 Depth=1
	s_mov_b32 s26, 0
	s_mov_b64 s[74:75], 0
                                        ; implicit-def: $sgpr76_sgpr77
                                        ; implicit-def: $sgpr78_sgpr79
	s_branch .LBB2_56
.LBB2_55:                               ;   in Loop: Header=BB2_56 Depth=2
	s_or_b64 exec, exec, s[90:91]
	s_and_b64 s[88:89], exec, s[92:93]
	s_or_b64 s[74:75], s[88:89], s[74:75]
	s_andn2_b64 s[76:77], s[76:77], exec
	s_and_b64 s[88:89], s[78:79], exec
	s_or_b64 s[76:77], s[76:77], s[88:89]
	s_andn2_b64 exec, exec, s[74:75]
	s_cbranch_execz .LBB2_60
.LBB2_56:                               ;   Parent Loop BB2_32 Depth=1
                                        ; =>  This Inner Loop Header: Depth=2
	s_add_i32 s26, s26, 1
	s_cmpk_lg_i32 s26, 0x2710
	s_cselect_b64 s[88:89], -1, 0
	s_and_b64 vcc, exec, s[88:89]
	s_cbranch_vccz .LBB2_58
; %bb.57:                               ;   in Loop: Header=BB2_56 Depth=2
	s_mov_b64 s[92:93], -1
	s_or_b64 s[78:79], s[78:79], exec
	s_and_saveexec_b64 s[90:91], s[88:89]
	s_cbranch_execz .LBB2_55
	s_branch .LBB2_59
.LBB2_58:                               ;   in Loop: Header=BB2_56 Depth=2
	s_trap 2
	ds_read_b64 v[17:18], v0
	s_andn2_b64 s[88:89], s[88:89], exec
	s_mov_b32 s26, 0
	s_waitcnt lgkmcnt(0)
	flat_load_dword v2, v[17:18] glc
	s_waitcnt vmcnt(0) lgkmcnt(0)
	buffer_wbinvl1_vol
	v_cmp_eq_u32_e32 vcc, 0, v2
	s_and_b64 s[90:91], vcc, exec
	s_or_b64 s[88:89], s[88:89], s[90:91]
	s_mov_b64 s[92:93], -1
	s_or_b64 s[78:79], s[78:79], exec
	s_and_saveexec_b64 s[90:91], s[88:89]
	s_cbranch_execz .LBB2_55
.LBB2_59:                               ;   in Loop: Header=BB2_56 Depth=2
	s_sleep 1
	s_trap 2
	ds_read_b64 v[17:18], v0
	s_waitcnt lgkmcnt(0)
	s_andn2_b64 s[78:79], s[78:79], exec
	v_cmp_ge_u64_e32 vcc, v[17:18], v[40:41]
	s_orn2_b64 s[92:93], vcc, exec
	s_branch .LBB2_55
.LBB2_60:                               ;   in Loop: Header=BB2_32 Depth=1
	s_or_b64 exec, exec, s[74:75]
	s_and_saveexec_b64 s[74:75], s[76:77]
	s_xor_b64 s[74:75], exec, s[74:75]
	s_cbranch_execz .LBB2_62
; %bb.61:                               ;   in Loop: Header=BB2_32 Depth=1
	v_mov_b32_e32 v2, 1
	ds_write_b32 v0, v2
	s_trap 2
.LBB2_62:                               ;   in Loop: Header=BB2_32 Depth=1
	s_or_b64 exec, exec, s[72:73]
	;;#ASMSTART
	s_wakeup
	;;#ASMEND
.LBB2_63:                               ;   in Loop: Header=BB2_32 Depth=1
	s_or_b64 exec, exec, s[62:63]
.LBB2_64:                               ;   in Loop: Header=BB2_32 Depth=1
	s_andn2_saveexec_b64 s[18:19], s[18:19]
	s_cbranch_execz .LBB2_66
; %bb.65:                               ;   in Loop: Header=BB2_32 Depth=1
	s_waitcnt vmcnt(0) lgkmcnt(0)
	buffer_wbinvl1_vol
	s_barrier
.LBB2_66:                               ;   in Loop: Header=BB2_32 Depth=1
	s_or_b64 exec, exec, s[18:19]
.LBB2_67:                               ;   in Loop: Header=BB2_32 Depth=1
	s_or_b64 exec, exec, s[16:17]
	buffer_load_dword v2, off, s[0:3], s32 offset:152 ; 4-byte Folded Reload
	buffer_load_dword v29, off, s[0:3], s32 offset:60 ; 4-byte Folded Reload
	;; [unrolled: 1-line block ×3, first 2 shown]
	v_and_b32_e32 v10, 7, v21
	v_add_u32_e32 v18, 1, v21
	s_waitcnt vmcnt(0)
	v_sub_u32_e32 v4, v4, v2
	v_cmp_lt_i32_e64 s[16:17], 0, v4
	s_and_saveexec_b64 s[62:63], s[16:17]
	s_cbranch_execz .LBB2_299
; %bb.68:                               ;   in Loop: Header=BB2_32 Depth=1
	buffer_load_dword v20, off, s[0:3], s32 offset:88 ; 4-byte Folded Reload
	buffer_load_dword v23, off, s[0:3], s32 offset:136 ; 4-byte Folded Reload
	;; [unrolled: 1-line block ×4, first 2 shown]
	s_waitcnt lgkmcnt(0)
	v_ashrrev_i32_e32 v2, 31, v0
	v_mul_lo_u32 v19, v10, s36
	s_mov_b64 s[72:73], 0
	v_mov_b32_e32 v30, v4
	s_waitcnt vmcnt(3)
	v_mul_lo_u32 v2, v20, v2
	s_waitcnt vmcnt(1)
	v_mad_u64_u32 v[46:47], s[18:19], v20, v0, v[23:24]
	s_waitcnt vmcnt(0)
	v_mul_lo_u32 v17, v17, v0
	v_mul_lo_u32 v0, v20, v0
	v_ashrrev_i32_e32 v20, 31, v19
	v_lshlrev_b64 v[19:20], 4, v[19:20]
	v_add3_u32 v47, v17, v47, v2
	v_add_lshl_u32 v26, v23, v0, 3
	buffer_load_dword v0, off, s[0:3], s32 offset:236 ; 4-byte Folded Reload
	s_waitcnt vmcnt(0)
	v_add_co_u32_e32 v56, vcc, v0, v19
	buffer_load_dword v0, off, s[0:3], s32 offset:240 ; 4-byte Folded Reload
	s_waitcnt vmcnt(0)
	v_addc_co_u32_e32 v57, vcc, v0, v20, vcc
	buffer_load_dword v19, off, s[0:3], s32 offset:60 ; 4-byte Folded Reload
	buffer_load_dword v20, off, s[0:3], s32 offset:64 ; 4-byte Folded Reload
	s_waitcnt vmcnt(1)
	v_mov_b32_e32 v29, v19
	s_branch .LBB2_71
.LBB2_69:                               ;   in Loop: Header=BB2_71 Depth=2
	s_or_b64 exec, exec, s[74:75]
.LBB2_70:                               ;   in Loop: Header=BB2_71 Depth=2
	s_or_b64 exec, exec, s[18:19]
	v_lshlrev_b32_e32 v0, 8, v23
	v_lshlrev_b32_e32 v2, 16, v24
	v_or3_b32 v0, v0, v17, v2
	v_lshlrev_b32_e32 v2, 24, v31
	v_lshlrev_b32_e32 v17, 8, v33
	;; [unrolled: 1-line block ×3, first 2 shown]
	v_or3_b32 v20, v17, v32, v20
	v_or3_b32 v17, v0, v2, 0
	buffer_load_dword v0, off, s[0:3], s32 offset:84 ; 4-byte Folded Reload
	v_add_co_u32_e32 v46, vcc, v46, v25
	v_lshlrev_b32_e32 v19, 24, v19
	v_sub_u32_e32 v30, v30, v25
	v_addc_co_u32_e32 v47, vcc, 0, v47, vcc
	v_or3_b32 v19, v20, v19, 0
	v_mov_b32_e32 v20, v18
	v_cmp_gt_i32_e32 vcc, 1, v30
	global_store_dwordx4 v[56:57], v[17:20], off
	s_or_b64 s[72:73], vcc, s[72:73]
	v_add_co_u32_e32 v56, vcc, v56, v5
	v_add_u32_e32 v29, v29, v1
	v_addc_co_u32_e32 v57, vcc, v57, v6, vcc
	s_waitcnt vmcnt(1)
	v_add_u32_e32 v26, v26, v0
	s_andn2_b64 exec, exec, s[72:73]
	s_cbranch_execz .LBB2_298
.LBB2_71:                               ;   Parent Loop BB2_32 Depth=1
                                        ; =>  This Inner Loop Header: Depth=2
	v_and_b32_e32 v19, -4, v46
	s_waitcnt vmcnt(0)
	v_mov_b32_e32 v20, v47
	global_load_dword v0, v[19:20], off glc slc
	v_min_u32_e32 v2, 8, v30
	v_and_b32_e32 v17, 3, v46
	v_add_u32_e32 v2, v17, v2
	v_cmp_lt_u32_e32 vcc, 4, v2
	v_mov_b32_e32 v32, 0
	v_mov_b32_e32 v33, 0
	s_and_saveexec_b64 s[18:19], vcc
	s_cbranch_execz .LBB2_73
; %bb.72:                               ;   in Loop: Header=BB2_71 Depth=2
	global_load_dword v33, v[19:20], off offset:4 glc slc
.LBB2_73:                               ;   in Loop: Header=BB2_71 Depth=2
	s_or_b64 exec, exec, s[18:19]
	v_cmp_lt_u64_e32 vcc, 8, v[2:3]
	s_and_saveexec_b64 s[18:19], vcc
	s_cbranch_execz .LBB2_75
; %bb.74:                               ;   in Loop: Header=BB2_71 Depth=2
	global_load_dword v32, v[19:20], off offset:8 glc slc
.LBB2_75:                               ;   in Loop: Header=BB2_71 Depth=2
	s_or_b64 exec, exec, s[18:19]
	s_waitcnt vmcnt(0)
	v_alignbit_b32 v2, v33, v0, v26
	v_cmp_ne_u16_sdwa s[74:75], v2, v3 src0_sel:BYTE_0 src1_sel:DWORD
	v_mov_b32_e32 v0, 0
	s_and_saveexec_b64 s[18:19], s[74:75]
	s_cbranch_execz .LBB2_83
; %bb.76:                               ;   in Loop: Header=BB2_71 Depth=2
	v_cmp_ne_u16_sdwa s[76:77], sext(v2), s38 src0_sel:BYTE_0 src1_sel:DWORD
	v_bfrev_b32_e32 v0, 1
	s_and_saveexec_b64 s[74:75], s[76:77]
	s_cbranch_execz .LBB2_82
; %bb.77:                               ;   in Loop: Header=BB2_71 Depth=2
	v_and_b32_e32 v0, 0x7c, v2
	v_and_b32_e32 v17, 3, v2
	v_cmp_ne_u32_e32 vcc, s39, v0
                                        ; implicit-def: $vgpr0
	s_and_saveexec_b64 s[76:77], vcc
	s_xor_b64 s[76:77], exec, s[76:77]
	s_cbranch_execz .LBB2_79
; %bb.78:                               ;   in Loop: Header=BB2_71 Depth=2
	v_ffbh_u32_e32 v19, v17
	v_min_u32_e32 v23, 32, v19
	v_subrev_u32_e32 v19, 29, v23
	v_lshlrev_b64 v[19:20], v19, v[2:3]
	v_bfe_u32 v0, v2, 2, 5
	v_and_b32_e32 v19, 3, v19
	v_cmp_eq_u32_e32 vcc, 0, v0
	v_sub_u32_e32 v20, 30, v23
	v_cndmask_b32_e32 v17, v17, v19, vcc
	v_lshlrev_b32_e32 v19, 24, v2
	v_cndmask_b32_e32 v0, v0, v20, vcc
	v_and_b32_e32 v19, 0x80000000, v19
	v_lshl_add_u32 v0, v0, 23, v19
	v_lshl_or_b32 v0, v17, 21, v0
	v_add_u32_e32 v0, 0x38000000, v0
                                        ; implicit-def: $vgpr17
.LBB2_79:                               ;   in Loop: Header=BB2_71 Depth=2
	s_andn2_saveexec_b64 s[76:77], s[76:77]
; %bb.80:                               ;   in Loop: Header=BB2_71 Depth=2
	v_cmp_gt_i16_sdwa vcc, sext(v2), v7 src0_sel:BYTE_0 src1_sel:DWORD
	v_cndmask_b32_e32 v0, v8, v54, vcc
	v_cmp_eq_u32_e32 vcc, 0, v17
	v_cndmask_b32_e32 v0, v55, v0, vcc
; %bb.81:                               ;   in Loop: Header=BB2_71 Depth=2
	s_or_b64 exec, exec, s[76:77]
.LBB2_82:                               ;   in Loop: Header=BB2_71 Depth=2
	s_or_b64 exec, exec, s[74:75]
.LBB2_83:                               ;   in Loop: Header=BB2_71 Depth=2
	s_or_b64 exec, exec, s[18:19]
	v_mul_f32_e32 v23, v62, v0
	v_and_b32_e32 v27, 0x7f800000, v23
	v_mov_b32_e32 v28, v3
	v_cmp_ne_u64_e32 vcc, s[56:57], v[27:28]
	v_and_b32_e32 v19, 0x7fffff, v23
	v_mov_b32_e32 v20, v3
                                        ; implicit-def: $vgpr17
	s_and_saveexec_b64 s[18:19], vcc
	s_xor_b64 s[74:75], exec, s[18:19]
	s_cbranch_execz .LBB2_97
; %bb.84:                               ;   in Loop: Header=BB2_71 Depth=2
	v_and_b32_e32 v27, 0x7fffffff, v23
	v_mov_b32_e32 v28, v3
	v_cmp_gt_u64_e32 vcc, s[58:59], v[27:28]
	v_and_b32_sdwa v0, v23, s48 dst_sel:DWORD dst_unused:UNUSED_PAD src0_sel:BYTE_3 src1_sel:DWORD
                                        ; implicit-def: $vgpr17
	s_and_saveexec_b64 s[18:19], vcc
	s_xor_b64 s[76:77], exec, s[18:19]
	s_cbranch_execz .LBB2_94
; %bb.85:                               ;   in Loop: Header=BB2_71 Depth=2
	v_mov_b32_e32 v17, 0
	v_cmp_ne_u32_e32 vcc, 0, v23
	s_and_saveexec_b64 s[78:79], vcc
	s_cbranch_execz .LBB2_93
; %bb.86:                               ;   in Loop: Header=BB2_71 Depth=2
	v_bfe_u32 v17, v23, 23, 8
	v_cmp_gt_u32_e64 s[18:19], s49, v17
	v_sub_u32_e32 v23, 0x71, v17
	v_cmp_eq_u32_e32 vcc, 0, v17
	v_cndmask_b32_e64 v23, 0, v23, s[18:19]
	v_or_b32_e32 v24, 0x800000, v19
	v_cndmask_b32_e32 v23, v23, v12, vcc
	v_cndmask_b32_e32 v19, v24, v19, vcc
	v_add_u32_e32 v24, 21, v23
	v_lshlrev_b64 v[27:28], v24, -1
	v_add_u32_e32 v24, 20, v23
	v_bfi_b32 v27, v27, 0, v19
	v_lshlrev_b64 v[36:37], v24, 1
	v_lshrrev_b64 v[19:20], v23, v[19:20]
	v_bfi_b32 v28, v28, 0, 0
	v_cmp_eq_u64_e64 s[18:19], v[27:28], v[36:37]
	v_mov_b32_e32 v28, v20
	v_mov_b32_e32 v27, v19
	s_and_saveexec_b64 s[88:89], s[18:19]
; %bb.87:                               ;   in Loop: Header=BB2_71 Depth=2
	v_bfe_u32 v20, v19, 21, 1
	v_add_co_u32_e64 v20, s[18:19], v19, v20
	v_add_co_u32_e64 v27, s[18:19], -1, v20
; %bb.88:                               ;   in Loop: Header=BB2_71 Depth=2
	s_or_b64 exec, exec, s[88:89]
	v_add_u32_e32 v17, 0xffffff81, v17
	v_cndmask_b32_e32 v17, v17, v48, vcc
	v_lshrrev_b32_e32 v20, 23, v19
	v_add3_u32 v24, v23, v17, v20
	v_add_u32_e32 v23, 14, v24
	v_and_b32_e32 v17, 0x1fffff, v27
	v_add_u32_e32 v19, v17, v19
	v_mov_b32_e32 v20, v3
	v_cmp_ne_u32_e32 vcc, 0, v23
                                        ; implicit-def: $vgpr17
	s_and_saveexec_b64 s[18:19], vcc
	s_xor_b64 s[18:19], exec, s[18:19]
; %bb.89:                               ;   in Loop: Header=BB2_71 Depth=2
	v_cmp_lt_u64_e32 vcc, s[60:61], v[19:20]
	v_add_u32_e32 v17, 15, v24
	v_cndmask_b32_e32 v17, v23, v17, vcc
	v_cndmask_b32_e64 v23, 0, 1, vcc
	v_lshrrev_b64 v[19:20], v23, v[19:20]
; %bb.90:                               ;   in Loop: Header=BB2_71 Depth=2
	s_andn2_saveexec_b64 s[18:19], s[18:19]
; %bb.91:                               ;   in Loop: Header=BB2_71 Depth=2
	v_bfe_u32 v17, v19, 23, 1
; %bb.92:                               ;   in Loop: Header=BB2_71 Depth=2
	s_or_b64 exec, exec, s[18:19]
	v_lshrrev_b64 v[19:20], 21, v[19:20]
	v_cmp_gt_i32_e32 vcc, 32, v17
	v_cndmask_b32_e32 v20, 0, v20, vcc
	v_cndmask_b32_e32 v19, 3, v19, vcc
	v_cmp_eq_u32_e32 vcc, 0, v17
	v_min_i32_e32 v17, 31, v17
	v_cmp_eq_u64_e64 s[18:19], 0, v[19:20]
	v_lshlrev_b32_e32 v17, 2, v17
	v_and_b32_e32 v17, 0xfc, v17
	v_and_or_b32 v17, v19, 3, v17
	s_and_b64 s[18:19], vcc, s[18:19]
	v_cndmask_b32_e64 v17, v17, 0, s[18:19]
	v_or_b32_e32 v17, v17, v0
.LBB2_93:                               ;   in Loop: Header=BB2_71 Depth=2
	s_or_b64 exec, exec, s[78:79]
                                        ; implicit-def: $vgpr0
.LBB2_94:                               ;   in Loop: Header=BB2_71 Depth=2
	s_andn2_saveexec_b64 s[18:19], s[76:77]
; %bb.95:                               ;   in Loop: Header=BB2_71 Depth=2
	v_or_b32_e32 v17, 0x7b, v0
; %bb.96:                               ;   in Loop: Header=BB2_71 Depth=2
	s_or_b64 exec, exec, s[18:19]
                                        ; implicit-def: $vgpr23
                                        ; implicit-def: $vgpr19_vgpr20
.LBB2_97:                               ;   in Loop: Header=BB2_71 Depth=2
	s_andn2_saveexec_b64 s[18:19], s[74:75]
	s_cbranch_execz .LBB2_103
; %bb.98:                               ;   in Loop: Header=BB2_71 Depth=2
	v_cmp_ne_u64_e32 vcc, 0, v[19:20]
                                        ; implicit-def: $vgpr17
	s_and_saveexec_b64 s[74:75], vcc
	s_xor_b64 s[74:75], exec, s[74:75]
; %bb.99:                               ;   in Loop: Header=BB2_71 Depth=2
	v_or_b32_sdwa v17, v23, s50 dst_sel:DWORD dst_unused:UNUSED_PAD src0_sel:BYTE_3 src1_sel:DWORD
                                        ; implicit-def: $vgpr23
; %bb.100:                              ;   in Loop: Header=BB2_71 Depth=2
	s_andn2_saveexec_b64 s[74:75], s[74:75]
; %bb.101:                              ;   in Loop: Header=BB2_71 Depth=2
	v_cmp_lt_i32_e32 vcc, -1, v23
	v_cndmask_b32_e32 v17, v49, v11, vcc
; %bb.102:                              ;   in Loop: Header=BB2_71 Depth=2
	s_or_b64 exec, exec, s[74:75]
.LBB2_103:                              ;   in Loop: Header=BB2_71 Depth=2
	s_or_b64 exec, exec, s[18:19]
	v_lshrrev_b16_e32 v19, 8, v2
	v_cmp_ne_u16_e32 vcc, 0, v19
	v_mov_b32_e32 v0, 0
	s_and_saveexec_b64 s[18:19], vcc
	s_cbranch_execz .LBB2_111
; %bb.104:                              ;   in Loop: Header=BB2_71 Depth=2
	v_cmp_ne_u16_e32 vcc, s48, v19
	v_bfrev_b32_e32 v0, 1
	s_and_saveexec_b64 s[74:75], vcc
	s_cbranch_execz .LBB2_110
; %bb.105:                              ;   in Loop: Header=BB2_71 Depth=2
	v_and_b32_e32 v0, 0x7c, v19
	v_and_b32_e32 v23, 3, v19
	v_cmp_ne_u32_e32 vcc, s39, v0
                                        ; implicit-def: $vgpr0
	s_and_saveexec_b64 s[76:77], vcc
	s_xor_b64 s[76:77], exec, s[76:77]
	s_cbranch_execz .LBB2_107
; %bb.106:                              ;   in Loop: Header=BB2_71 Depth=2
	v_ffbh_u32_e32 v24, v23
	v_min_u32_e32 v24, 32, v24
	v_mov_b32_e32 v20, v3
	v_subrev_u32_e32 v27, 29, v24
	v_bfe_u32 v0, v19, 2, 5
	v_lshlrev_b64 v[19:20], v27, v[19:20]
	v_sub_u32_e32 v20, 30, v24
	v_cmp_eq_u32_e32 vcc, 0, v0
	v_cndmask_b32_e32 v0, v0, v20, vcc
	v_lshlrev_b32_e32 v20, 16, v2
	v_and_b32_e32 v19, 3, v19
	v_and_b32_e32 v20, 0x80000000, v20
	v_cndmask_b32_e32 v19, v23, v19, vcc
	v_lshl_add_u32 v0, v0, 23, v20
	v_lshl_or_b32 v0, v19, 21, v0
	v_add_u32_e32 v0, 0x38000000, v0
                                        ; implicit-def: $vgpr23
.LBB2_107:                              ;   in Loop: Header=BB2_71 Depth=2
	s_andn2_saveexec_b64 s[76:77], s[76:77]
; %bb.108:                              ;   in Loop: Header=BB2_71 Depth=2
	v_cmp_lt_i16_e32 vcc, -1, v2
	v_cndmask_b32_e32 v0, v8, v54, vcc
	v_cmp_eq_u32_e32 vcc, 0, v23
	v_cndmask_b32_e32 v0, v55, v0, vcc
; %bb.109:                              ;   in Loop: Header=BB2_71 Depth=2
	s_or_b64 exec, exec, s[76:77]
.LBB2_110:                              ;   in Loop: Header=BB2_71 Depth=2
	s_or_b64 exec, exec, s[74:75]
.LBB2_111:                              ;   in Loop: Header=BB2_71 Depth=2
	s_or_b64 exec, exec, s[18:19]
	v_mul_f32_e32 v24, v62, v0
	v_and_b32_e32 v27, 0x7f800000, v24
	v_mov_b32_e32 v28, v3
	v_cmp_ne_u64_e32 vcc, s[56:57], v[27:28]
	v_and_b32_e32 v19, 0x7fffff, v24
	v_mov_b32_e32 v20, v3
                                        ; implicit-def: $vgpr23
	s_and_saveexec_b64 s[18:19], vcc
	s_xor_b64 s[74:75], exec, s[18:19]
	s_cbranch_execz .LBB2_125
; %bb.112:                              ;   in Loop: Header=BB2_71 Depth=2
	v_and_b32_e32 v27, 0x7fffffff, v24
	v_mov_b32_e32 v28, v3
	v_cmp_gt_u64_e32 vcc, s[58:59], v[27:28]
	v_and_b32_sdwa v0, v24, s48 dst_sel:DWORD dst_unused:UNUSED_PAD src0_sel:BYTE_3 src1_sel:DWORD
                                        ; implicit-def: $vgpr23
	s_and_saveexec_b64 s[18:19], vcc
	s_xor_b64 s[76:77], exec, s[18:19]
	s_cbranch_execz .LBB2_122
; %bb.113:                              ;   in Loop: Header=BB2_71 Depth=2
	v_mov_b32_e32 v23, 0
	v_cmp_ne_u32_e32 vcc, 0, v24
	s_and_saveexec_b64 s[78:79], vcc
	s_cbranch_execz .LBB2_121
; %bb.114:                              ;   in Loop: Header=BB2_71 Depth=2
	v_bfe_u32 v23, v24, 23, 8
	v_cmp_gt_u32_e64 s[18:19], s49, v23
	v_sub_u32_e32 v24, 0x71, v23
	v_cmp_eq_u32_e32 vcc, 0, v23
	v_cndmask_b32_e64 v24, 0, v24, s[18:19]
	v_or_b32_e32 v27, 0x800000, v19
	v_cndmask_b32_e32 v24, v24, v12, vcc
	v_cndmask_b32_e32 v19, v27, v19, vcc
	v_add_u32_e32 v27, 21, v24
	v_lshlrev_b64 v[27:28], v27, -1
	v_add_u32_e32 v31, 20, v24
	v_bfi_b32 v27, v27, 0, v19
	v_lshlrev_b64 v[36:37], v31, 1
	v_lshrrev_b64 v[19:20], v24, v[19:20]
	v_bfi_b32 v28, v28, 0, 0
	v_cmp_eq_u64_e64 s[18:19], v[27:28], v[36:37]
	v_mov_b32_e32 v28, v20
	v_mov_b32_e32 v27, v19
	s_and_saveexec_b64 s[88:89], s[18:19]
; %bb.115:                              ;   in Loop: Header=BB2_71 Depth=2
	v_bfe_u32 v20, v19, 21, 1
	v_add_co_u32_e64 v20, s[18:19], v19, v20
	v_add_co_u32_e64 v27, s[18:19], -1, v20
; %bb.116:                              ;   in Loop: Header=BB2_71 Depth=2
	s_or_b64 exec, exec, s[88:89]
	v_add_u32_e32 v20, 0xffffff81, v23
	v_cndmask_b32_e32 v20, v20, v48, vcc
	v_lshrrev_b32_e32 v23, 23, v19
	v_add3_u32 v28, v24, v20, v23
	v_add_u32_e32 v24, 14, v28
	v_and_b32_e32 v20, 0x1fffff, v27
	v_add_u32_e32 v19, v20, v19
	v_mov_b32_e32 v20, v3
	v_cmp_ne_u32_e32 vcc, 0, v24
                                        ; implicit-def: $vgpr23
	s_and_saveexec_b64 s[18:19], vcc
	s_xor_b64 s[18:19], exec, s[18:19]
; %bb.117:                              ;   in Loop: Header=BB2_71 Depth=2
	v_cmp_lt_u64_e32 vcc, s[60:61], v[19:20]
	v_add_u32_e32 v23, 15, v28
	v_cndmask_b32_e32 v23, v24, v23, vcc
	v_cndmask_b32_e64 v24, 0, 1, vcc
	v_lshrrev_b64 v[19:20], v24, v[19:20]
; %bb.118:                              ;   in Loop: Header=BB2_71 Depth=2
	s_andn2_saveexec_b64 s[18:19], s[18:19]
; %bb.119:                              ;   in Loop: Header=BB2_71 Depth=2
	v_bfe_u32 v23, v19, 23, 1
; %bb.120:                              ;   in Loop: Header=BB2_71 Depth=2
	s_or_b64 exec, exec, s[18:19]
	v_lshrrev_b64 v[19:20], 21, v[19:20]
	v_cmp_gt_i32_e32 vcc, 32, v23
	v_cndmask_b32_e32 v20, 0, v20, vcc
	v_cndmask_b32_e32 v19, 3, v19, vcc
	v_cmp_eq_u64_e64 s[18:19], 0, v[19:20]
	v_min_i32_e32 v20, 31, v23
	v_lshlrev_b32_e32 v20, 2, v20
	v_cmp_eq_u32_e32 vcc, 0, v23
	v_and_b32_e32 v20, 0xfc, v20
	v_and_or_b32 v19, v19, 3, v20
	s_and_b64 s[18:19], vcc, s[18:19]
	v_cndmask_b32_e64 v19, v19, 0, s[18:19]
	v_or_b32_e32 v23, v19, v0
.LBB2_121:                              ;   in Loop: Header=BB2_71 Depth=2
	s_or_b64 exec, exec, s[78:79]
                                        ; implicit-def: $vgpr0
.LBB2_122:                              ;   in Loop: Header=BB2_71 Depth=2
	s_andn2_saveexec_b64 s[18:19], s[76:77]
; %bb.123:                              ;   in Loop: Header=BB2_71 Depth=2
	v_or_b32_e32 v23, 0x7b, v0
; %bb.124:                              ;   in Loop: Header=BB2_71 Depth=2
	s_or_b64 exec, exec, s[18:19]
                                        ; implicit-def: $vgpr24
                                        ; implicit-def: $vgpr19_vgpr20
.LBB2_125:                              ;   in Loop: Header=BB2_71 Depth=2
	s_andn2_saveexec_b64 s[18:19], s[74:75]
	s_cbranch_execz .LBB2_131
; %bb.126:                              ;   in Loop: Header=BB2_71 Depth=2
	v_cmp_ne_u64_e32 vcc, 0, v[19:20]
                                        ; implicit-def: $vgpr23
	s_and_saveexec_b64 s[74:75], vcc
	s_xor_b64 s[74:75], exec, s[74:75]
; %bb.127:                              ;   in Loop: Header=BB2_71 Depth=2
	v_or_b32_sdwa v23, v24, s50 dst_sel:DWORD dst_unused:UNUSED_PAD src0_sel:BYTE_3 src1_sel:DWORD
                                        ; implicit-def: $vgpr24
; %bb.128:                              ;   in Loop: Header=BB2_71 Depth=2
	s_andn2_saveexec_b64 s[74:75], s[74:75]
; %bb.129:                              ;   in Loop: Header=BB2_71 Depth=2
	v_cmp_lt_i32_e32 vcc, -1, v24
	v_cndmask_b32_e32 v23, v49, v11, vcc
; %bb.130:                              ;   in Loop: Header=BB2_71 Depth=2
	s_or_b64 exec, exec, s[74:75]
.LBB2_131:                              ;   in Loop: Header=BB2_71 Depth=2
	s_or_b64 exec, exec, s[18:19]
	v_and_b32_sdwa v20, v2, s37 dst_sel:DWORD dst_unused:UNUSED_PAD src0_sel:WORD_1 src1_sel:DWORD
	v_lshrrev_b32_e32 v19, 16, v2
	v_cmp_ne_u16_e32 vcc, 0, v20
	v_mov_b32_e32 v0, 0
	s_and_saveexec_b64 s[18:19], vcc
	s_cbranch_execz .LBB2_139
; %bb.132:                              ;   in Loop: Header=BB2_71 Depth=2
	v_cmp_ne_u16_e32 vcc, s48, v20
	v_bfrev_b32_e32 v0, 1
	s_and_saveexec_b64 s[74:75], vcc
	s_cbranch_execz .LBB2_138
; %bb.133:                              ;   in Loop: Header=BB2_71 Depth=2
	v_and_b32_e32 v0, 0x7c0000, v2
	v_bfe_u32 v20, v2, 16, 2
	v_cmp_ne_u32_e32 vcc, s51, v0
                                        ; implicit-def: $vgpr0
	s_and_saveexec_b64 s[76:77], vcc
	s_xor_b64 s[76:77], exec, s[76:77]
	s_cbranch_execz .LBB2_135
; %bb.134:                              ;   in Loop: Header=BB2_71 Depth=2
	v_ffbh_u32_e32 v24, v20
	v_min_u32_e32 v24, 32, v24
	v_lshrrev_b32_e32 v0, 16, v2
	v_subrev_u32_e32 v27, 29, v24
	v_lshlrev_b64 v[27:28], v27, v[0:1]
	v_bfe_u32 v19, v2, 18, 5
	v_sub_u32_e32 v0, 30, v24
	v_and_b32_e32 v24, 3, v27
	v_cmp_eq_u32_e32 vcc, 0, v19
	v_cndmask_b32_e32 v0, v19, v0, vcc
	v_cndmask_b32_e32 v19, v20, v24, vcc
	v_lshlrev_b32_e32 v20, 8, v2
	v_and_b32_e32 v20, 0x80000000, v20
	v_lshl_add_u32 v0, v0, 23, v20
	v_lshl_or_b32 v0, v19, 21, v0
	v_add_u32_e32 v0, 0x38000000, v0
                                        ; implicit-def: $vgpr20
                                        ; implicit-def: $vgpr19
.LBB2_135:                              ;   in Loop: Header=BB2_71 Depth=2
	s_andn2_saveexec_b64 s[76:77], s[76:77]
; %bb.136:                              ;   in Loop: Header=BB2_71 Depth=2
	v_cmp_gt_i16_sdwa vcc, sext(v19), v7 src0_sel:BYTE_0 src1_sel:DWORD
	v_cndmask_b32_e32 v0, v8, v54, vcc
	v_cmp_eq_u32_e32 vcc, 0, v20
	v_cndmask_b32_e32 v0, v55, v0, vcc
; %bb.137:                              ;   in Loop: Header=BB2_71 Depth=2
	s_or_b64 exec, exec, s[76:77]
.LBB2_138:                              ;   in Loop: Header=BB2_71 Depth=2
	s_or_b64 exec, exec, s[74:75]
.LBB2_139:                              ;   in Loop: Header=BB2_71 Depth=2
	s_or_b64 exec, exec, s[18:19]
	v_mul_f32_e32 v27, v62, v0
	v_and_b32_e32 v36, 0x7f800000, v27
	v_mov_b32_e32 v37, v3
	v_cmp_ne_u64_e32 vcc, s[56:57], v[36:37]
	v_and_b32_e32 v19, 0x7fffff, v27
	v_mov_b32_e32 v20, v3
                                        ; implicit-def: $vgpr24
	s_and_saveexec_b64 s[18:19], vcc
	s_xor_b64 s[74:75], exec, s[18:19]
	s_cbranch_execz .LBB2_153
; %bb.140:                              ;   in Loop: Header=BB2_71 Depth=2
	v_and_b32_e32 v36, 0x7fffffff, v27
	v_mov_b32_e32 v37, v3
	v_cmp_gt_u64_e32 vcc, s[58:59], v[36:37]
	v_and_b32_sdwa v0, v27, s48 dst_sel:DWORD dst_unused:UNUSED_PAD src0_sel:BYTE_3 src1_sel:DWORD
                                        ; implicit-def: $vgpr24
	s_and_saveexec_b64 s[18:19], vcc
	s_xor_b64 s[76:77], exec, s[18:19]
	s_cbranch_execz .LBB2_150
; %bb.141:                              ;   in Loop: Header=BB2_71 Depth=2
	v_mov_b32_e32 v24, 0
	v_cmp_ne_u32_e32 vcc, 0, v27
	s_and_saveexec_b64 s[78:79], vcc
	s_cbranch_execz .LBB2_149
; %bb.142:                              ;   in Loop: Header=BB2_71 Depth=2
	v_bfe_u32 v24, v27, 23, 8
	v_cmp_gt_u32_e64 s[18:19], s49, v24
	v_sub_u32_e32 v27, 0x71, v24
	v_cmp_eq_u32_e32 vcc, 0, v24
	v_cndmask_b32_e64 v27, 0, v27, s[18:19]
	v_cndmask_b32_e32 v31, v27, v12, vcc
	v_or_b32_e32 v28, 0x800000, v19
	v_add_u32_e32 v27, 21, v31
	v_cndmask_b32_e32 v19, v28, v19, vcc
	v_lshlrev_b64 v[27:28], v27, -1
	v_add_u32_e32 v36, 20, v31
	v_bfi_b32 v27, v27, 0, v19
	v_lshlrev_b64 v[36:37], v36, 1
	v_lshrrev_b64 v[19:20], v31, v[19:20]
	v_bfi_b32 v28, v28, 0, 0
	v_cmp_eq_u64_e64 s[18:19], v[27:28], v[36:37]
	v_mov_b32_e32 v28, v20
	v_mov_b32_e32 v27, v19
	s_and_saveexec_b64 s[88:89], s[18:19]
; %bb.143:                              ;   in Loop: Header=BB2_71 Depth=2
	v_bfe_u32 v20, v19, 21, 1
	v_add_co_u32_e64 v20, s[18:19], v19, v20
	v_add_co_u32_e64 v27, s[18:19], -1, v20
; %bb.144:                              ;   in Loop: Header=BB2_71 Depth=2
	s_or_b64 exec, exec, s[88:89]
	v_add_u32_e32 v20, 0xffffff81, v24
	v_cndmask_b32_e32 v20, v20, v48, vcc
	v_lshrrev_b32_e32 v24, 23, v19
	v_add3_u32 v31, v31, v20, v24
	v_add_u32_e32 v28, 14, v31
	v_and_b32_e32 v20, 0x1fffff, v27
	v_add_u32_e32 v19, v20, v19
	v_mov_b32_e32 v20, v3
	v_cmp_ne_u32_e32 vcc, 0, v28
                                        ; implicit-def: $vgpr24
	s_and_saveexec_b64 s[18:19], vcc
	s_xor_b64 s[18:19], exec, s[18:19]
; %bb.145:                              ;   in Loop: Header=BB2_71 Depth=2
	v_cmp_lt_u64_e32 vcc, s[60:61], v[19:20]
	v_add_u32_e32 v24, 15, v31
	v_cndmask_b32_e64 v27, 0, 1, vcc
	v_cndmask_b32_e32 v24, v28, v24, vcc
	v_lshrrev_b64 v[19:20], v27, v[19:20]
; %bb.146:                              ;   in Loop: Header=BB2_71 Depth=2
	s_andn2_saveexec_b64 s[18:19], s[18:19]
; %bb.147:                              ;   in Loop: Header=BB2_71 Depth=2
	v_bfe_u32 v24, v19, 23, 1
; %bb.148:                              ;   in Loop: Header=BB2_71 Depth=2
	s_or_b64 exec, exec, s[18:19]
	v_lshrrev_b64 v[19:20], 21, v[19:20]
	v_cmp_gt_i32_e32 vcc, 32, v24
	v_cndmask_b32_e32 v20, 0, v20, vcc
	v_cndmask_b32_e32 v19, 3, v19, vcc
	v_cmp_eq_u64_e64 s[18:19], 0, v[19:20]
	v_min_i32_e32 v20, 31, v24
	v_lshlrev_b32_e32 v20, 2, v20
	v_cmp_eq_u32_e32 vcc, 0, v24
	v_and_b32_e32 v20, 0xfc, v20
	v_and_or_b32 v19, v19, 3, v20
	s_and_b64 s[18:19], vcc, s[18:19]
	v_cndmask_b32_e64 v19, v19, 0, s[18:19]
	v_or_b32_e32 v24, v19, v0
.LBB2_149:                              ;   in Loop: Header=BB2_71 Depth=2
	s_or_b64 exec, exec, s[78:79]
                                        ; implicit-def: $vgpr0
.LBB2_150:                              ;   in Loop: Header=BB2_71 Depth=2
	s_andn2_saveexec_b64 s[18:19], s[76:77]
; %bb.151:                              ;   in Loop: Header=BB2_71 Depth=2
	v_or_b32_e32 v24, 0x7b, v0
; %bb.152:                              ;   in Loop: Header=BB2_71 Depth=2
	s_or_b64 exec, exec, s[18:19]
                                        ; implicit-def: $vgpr27
                                        ; implicit-def: $vgpr19_vgpr20
.LBB2_153:                              ;   in Loop: Header=BB2_71 Depth=2
	s_andn2_saveexec_b64 s[18:19], s[74:75]
	s_cbranch_execz .LBB2_159
; %bb.154:                              ;   in Loop: Header=BB2_71 Depth=2
	v_cmp_ne_u64_e32 vcc, 0, v[19:20]
                                        ; implicit-def: $vgpr24
	s_and_saveexec_b64 s[74:75], vcc
	s_xor_b64 s[74:75], exec, s[74:75]
; %bb.155:                              ;   in Loop: Header=BB2_71 Depth=2
	v_or_b32_sdwa v24, v27, s50 dst_sel:DWORD dst_unused:UNUSED_PAD src0_sel:BYTE_3 src1_sel:DWORD
                                        ; implicit-def: $vgpr27
; %bb.156:                              ;   in Loop: Header=BB2_71 Depth=2
	s_andn2_saveexec_b64 s[74:75], s[74:75]
; %bb.157:                              ;   in Loop: Header=BB2_71 Depth=2
	v_cmp_lt_i32_e32 vcc, -1, v27
	v_cndmask_b32_e32 v24, v49, v11, vcc
; %bb.158:                              ;   in Loop: Header=BB2_71 Depth=2
	s_or_b64 exec, exec, s[74:75]
.LBB2_159:                              ;   in Loop: Header=BB2_71 Depth=2
	s_or_b64 exec, exec, s[18:19]
	v_cmp_lt_u32_e32 vcc, s47, v2
	v_mov_b32_e32 v19, 0
	s_and_saveexec_b64 s[18:19], vcc
	s_cbranch_execz .LBB2_167
; %bb.160:                              ;   in Loop: Header=BB2_71 Depth=2
	v_lshrrev_b32_e32 v0, 24, v2
	v_cmp_ne_u32_e32 vcc, s48, v0
	v_bfrev_b32_e32 v19, 1
	s_and_saveexec_b64 s[74:75], vcc
	s_cbranch_execz .LBB2_166
; %bb.161:                              ;   in Loop: Header=BB2_71 Depth=2
	v_and_b32_e32 v19, 0x7c000000, v2
	v_bfe_u32 v20, v2, 24, 2
	v_cmp_ne_u32_e32 vcc, s52, v19
                                        ; implicit-def: $vgpr19
	s_and_saveexec_b64 s[76:77], vcc
	s_xor_b64 s[76:77], exec, s[76:77]
	s_cbranch_execz .LBB2_163
; %bb.162:                              ;   in Loop: Header=BB2_71 Depth=2
	v_ffbh_u32_e32 v27, v20
	v_min_u32_e32 v31, 32, v27
	v_subrev_u32_e32 v27, 29, v31
	v_bfe_u32 v19, v2, 26, 5
	v_lshlrev_b64 v[27:28], v27, v[0:1]
	v_sub_u32_e32 v0, 30, v31
	v_cmp_eq_u32_e32 vcc, 0, v19
	v_and_b32_e32 v27, 3, v27
	v_cndmask_b32_e32 v0, v19, v0, vcc
	v_and_b32_e32 v2, 0x80000000, v2
	v_cndmask_b32_e32 v19, v20, v27, vcc
	v_lshl_add_u32 v0, v0, 23, v2
	v_lshl_or_b32 v0, v19, 21, v0
	v_add_u32_e32 v19, 0x38000000, v0
                                        ; implicit-def: $vgpr20
.LBB2_163:                              ;   in Loop: Header=BB2_71 Depth=2
	s_andn2_saveexec_b64 s[76:77], s[76:77]
; %bb.164:                              ;   in Loop: Header=BB2_71 Depth=2
	v_cmp_lt_i32_e32 vcc, -1, v2
	v_cndmask_b32_e32 v0, v8, v54, vcc
	v_cmp_eq_u32_e32 vcc, 0, v20
	v_cndmask_b32_e32 v19, v55, v0, vcc
; %bb.165:                              ;   in Loop: Header=BB2_71 Depth=2
	s_or_b64 exec, exec, s[76:77]
.LBB2_166:                              ;   in Loop: Header=BB2_71 Depth=2
	s_or_b64 exec, exec, s[74:75]
.LBB2_167:                              ;   in Loop: Header=BB2_71 Depth=2
	s_or_b64 exec, exec, s[18:19]
	v_mul_f32_e32 v19, v62, v19
	v_and_b32_e32 v27, 0x7f800000, v19
	v_mov_b32_e32 v28, v3
	v_cmp_ne_u64_e32 vcc, s[56:57], v[27:28]
	v_and_b32_e32 v2, 0x7fffff, v19
                                        ; implicit-def: $vgpr31
	s_and_saveexec_b64 s[18:19], vcc
	s_xor_b64 s[74:75], exec, s[18:19]
	s_cbranch_execz .LBB2_181
; %bb.168:                              ;   in Loop: Header=BB2_71 Depth=2
	v_and_b32_e32 v27, 0x7fffffff, v19
	v_mov_b32_e32 v28, v3
	v_cmp_gt_u64_e32 vcc, s[58:59], v[27:28]
	v_and_b32_sdwa v0, v19, s48 dst_sel:DWORD dst_unused:UNUSED_PAD src0_sel:BYTE_3 src1_sel:DWORD
                                        ; implicit-def: $vgpr31
	s_and_saveexec_b64 s[18:19], vcc
	s_xor_b64 s[76:77], exec, s[18:19]
	s_cbranch_execz .LBB2_178
; %bb.169:                              ;   in Loop: Header=BB2_71 Depth=2
	v_mov_b32_e32 v31, 0
	v_cmp_ne_u32_e32 vcc, 0, v19
	s_and_saveexec_b64 s[78:79], vcc
	s_cbranch_execz .LBB2_177
; %bb.170:                              ;   in Loop: Header=BB2_71 Depth=2
	v_bfe_u32 v31, v19, 23, 8
	v_cmp_gt_u32_e64 s[18:19], s49, v31
	v_sub_u32_e32 v19, 0x71, v31
	v_cmp_eq_u32_e32 vcc, 0, v31
	v_cndmask_b32_e64 v19, 0, v19, s[18:19]
	v_cndmask_b32_e32 v36, v19, v12, vcc
	v_or_b32_e32 v20, 0x800000, v2
	v_add_u32_e32 v19, 21, v36
	v_cndmask_b32_e32 v2, v20, v2, vcc
	v_lshlrev_b64 v[19:20], v19, -1
	v_add_u32_e32 v27, 20, v36
	v_lshlrev_b64 v[27:28], v27, 1
	v_bfi_b32 v20, v20, 0, 0
	v_bfi_b32 v19, v19, 0, v2
	v_cmp_eq_u64_e64 s[18:19], v[19:20], v[27:28]
	v_lshrrev_b64 v[19:20], v36, v[2:3]
	v_mov_b32_e32 v28, v20
	v_mov_b32_e32 v27, v19
	s_and_saveexec_b64 s[88:89], s[18:19]
; %bb.171:                              ;   in Loop: Header=BB2_71 Depth=2
	v_bfe_u32 v2, v19, 21, 1
	v_add_co_u32_e64 v2, s[18:19], v19, v2
	v_add_co_u32_e64 v27, s[18:19], -1, v2
; %bb.172:                              ;   in Loop: Header=BB2_71 Depth=2
	s_or_b64 exec, exec, s[88:89]
	v_add_u32_e32 v2, 0xffffff81, v31
	v_cndmask_b32_e32 v2, v2, v48, vcc
	v_lshrrev_b32_e32 v20, 23, v19
	v_add3_u32 v31, v36, v2, v20
	v_add_u32_e32 v28, 14, v31
	v_and_b32_e32 v2, 0x1fffff, v27
	v_add_u32_e32 v2, v2, v19
	v_cmp_ne_u32_e32 vcc, 0, v28
                                        ; implicit-def: $vgpr19_vgpr20
                                        ; implicit-def: $vgpr27
	s_and_saveexec_b64 s[18:19], vcc
	s_xor_b64 s[18:19], exec, s[18:19]
; %bb.173:                              ;   in Loop: Header=BB2_71 Depth=2
	v_cmp_lt_u64_e32 vcc, s[60:61], v[2:3]
	v_add_u32_e32 v19, 15, v31
	v_cndmask_b32_e32 v27, v28, v19, vcc
	v_cndmask_b32_e64 v19, 0, 1, vcc
	v_lshrrev_b64 v[19:20], v19, v[2:3]
; %bb.174:                              ;   in Loop: Header=BB2_71 Depth=2
	s_andn2_saveexec_b64 s[18:19], s[18:19]
; %bb.175:                              ;   in Loop: Header=BB2_71 Depth=2
	v_mov_b32_e32 v20, v3
	v_bfe_u32 v27, v2, 23, 1
	v_mov_b32_e32 v19, v2
; %bb.176:                              ;   in Loop: Header=BB2_71 Depth=2
	s_or_b64 exec, exec, s[18:19]
	v_lshrrev_b64 v[19:20], 21, v[19:20]
	v_cmp_gt_i32_e32 vcc, 32, v27
	v_cndmask_b32_e32 v20, 0, v20, vcc
	v_cndmask_b32_e32 v19, 3, v19, vcc
	v_min_i32_e32 v2, 31, v27
	v_cmp_eq_u64_e64 s[18:19], 0, v[19:20]
	v_lshlrev_b32_e32 v2, 2, v2
	v_cmp_eq_u32_e32 vcc, 0, v27
	v_and_b32_e32 v2, 0xfc, v2
	v_and_or_b32 v2, v19, 3, v2
	s_and_b64 s[18:19], vcc, s[18:19]
	v_cndmask_b32_e64 v2, v2, 0, s[18:19]
	v_or_b32_e32 v31, v2, v0
.LBB2_177:                              ;   in Loop: Header=BB2_71 Depth=2
	s_or_b64 exec, exec, s[78:79]
                                        ; implicit-def: $vgpr0
.LBB2_178:                              ;   in Loop: Header=BB2_71 Depth=2
	s_andn2_saveexec_b64 s[18:19], s[76:77]
; %bb.179:                              ;   in Loop: Header=BB2_71 Depth=2
	v_or_b32_e32 v31, 0x7b, v0
; %bb.180:                              ;   in Loop: Header=BB2_71 Depth=2
	s_or_b64 exec, exec, s[18:19]
                                        ; implicit-def: $vgpr19
.LBB2_181:                              ;   in Loop: Header=BB2_71 Depth=2
	s_andn2_saveexec_b64 s[18:19], s[74:75]
	s_cbranch_execz .LBB2_187
; %bb.182:                              ;   in Loop: Header=BB2_71 Depth=2
	v_cmp_ne_u64_e32 vcc, 0, v[2:3]
                                        ; implicit-def: $vgpr31
	s_and_saveexec_b64 s[74:75], vcc
	s_xor_b64 s[74:75], exec, s[74:75]
; %bb.183:                              ;   in Loop: Header=BB2_71 Depth=2
	v_or_b32_sdwa v31, v19, s50 dst_sel:DWORD dst_unused:UNUSED_PAD src0_sel:BYTE_3 src1_sel:DWORD
                                        ; implicit-def: $vgpr19
; %bb.184:                              ;   in Loop: Header=BB2_71 Depth=2
	s_andn2_saveexec_b64 s[74:75], s[74:75]
; %bb.185:                              ;   in Loop: Header=BB2_71 Depth=2
	v_cmp_lt_i32_e32 vcc, -1, v19
	v_cndmask_b32_e32 v31, v49, v11, vcc
; %bb.186:                              ;   in Loop: Header=BB2_71 Depth=2
	s_or_b64 exec, exec, s[74:75]
.LBB2_187:                              ;   in Loop: Header=BB2_71 Depth=2
	s_or_b64 exec, exec, s[18:19]
	v_alignbit_b32 v2, v32, v33, v26
	v_cmp_ne_u16_sdwa s[74:75], v2, v3 src0_sel:BYTE_0 src1_sel:DWORD
	v_mov_b32_e32 v0, 0
	s_and_saveexec_b64 s[18:19], s[74:75]
	s_cbranch_execz .LBB2_195
; %bb.188:                              ;   in Loop: Header=BB2_71 Depth=2
	v_cmp_ne_u16_sdwa s[76:77], sext(v2), s38 src0_sel:BYTE_0 src1_sel:DWORD
	v_bfrev_b32_e32 v0, 1
	s_and_saveexec_b64 s[74:75], s[76:77]
	s_cbranch_execz .LBB2_194
; %bb.189:                              ;   in Loop: Header=BB2_71 Depth=2
	v_and_b32_e32 v0, 0x7c, v2
	v_and_b32_e32 v19, 3, v2
	v_cmp_ne_u32_e32 vcc, s39, v0
                                        ; implicit-def: $vgpr0
	s_and_saveexec_b64 s[76:77], vcc
	s_xor_b64 s[76:77], exec, s[76:77]
	s_cbranch_execz .LBB2_191
; %bb.190:                              ;   in Loop: Header=BB2_71 Depth=2
	v_ffbh_u32_e32 v20, v19
	v_min_u32_e32 v20, 32, v20
	v_bfe_u32 v0, v2, 2, 5
	v_subrev_u32_e32 v27, 29, v20
	v_lshlrev_b64 v[27:28], v27, v[2:3]
	v_sub_u32_e32 v20, 30, v20
	v_cmp_eq_u32_e32 vcc, 0, v0
	v_cndmask_b32_e32 v0, v0, v20, vcc
	v_lshlrev_b32_e32 v20, 24, v2
	v_and_b32_e32 v27, 3, v27
	v_and_b32_e32 v20, 0x80000000, v20
	v_cndmask_b32_e32 v19, v19, v27, vcc
	v_lshl_add_u32 v0, v0, 23, v20
	v_lshl_or_b32 v0, v19, 21, v0
	v_add_u32_e32 v0, 0x38000000, v0
                                        ; implicit-def: $vgpr19
.LBB2_191:                              ;   in Loop: Header=BB2_71 Depth=2
	s_andn2_saveexec_b64 s[76:77], s[76:77]
; %bb.192:                              ;   in Loop: Header=BB2_71 Depth=2
	v_cmp_gt_i16_sdwa vcc, sext(v2), v7 src0_sel:BYTE_0 src1_sel:DWORD
	v_cndmask_b32_e32 v0, v8, v54, vcc
	v_cmp_eq_u32_e32 vcc, 0, v19
	v_cndmask_b32_e32 v0, v55, v0, vcc
; %bb.193:                              ;   in Loop: Header=BB2_71 Depth=2
	s_or_b64 exec, exec, s[76:77]
.LBB2_194:                              ;   in Loop: Header=BB2_71 Depth=2
	s_or_b64 exec, exec, s[74:75]
.LBB2_195:                              ;   in Loop: Header=BB2_71 Depth=2
	s_or_b64 exec, exec, s[18:19]
	v_mul_f32_e32 v27, v62, v0
	v_and_b32_e32 v32, 0x7f800000, v27
	v_mov_b32_e32 v33, v3
	v_cmp_ne_u64_e32 vcc, s[56:57], v[32:33]
	v_and_b32_e32 v19, 0x7fffff, v27
	v_mov_b32_e32 v20, v3
                                        ; implicit-def: $vgpr32
	s_and_saveexec_b64 s[18:19], vcc
	s_xor_b64 s[74:75], exec, s[18:19]
	s_cbranch_execz .LBB2_209
; %bb.196:                              ;   in Loop: Header=BB2_71 Depth=2
	v_and_b32_e32 v32, 0x7fffffff, v27
	v_mov_b32_e32 v33, v3
	v_cmp_gt_u64_e32 vcc, s[58:59], v[32:33]
	v_and_b32_sdwa v0, v27, s48 dst_sel:DWORD dst_unused:UNUSED_PAD src0_sel:BYTE_3 src1_sel:DWORD
                                        ; implicit-def: $vgpr32
	s_and_saveexec_b64 s[18:19], vcc
	s_xor_b64 s[76:77], exec, s[18:19]
	s_cbranch_execz .LBB2_206
; %bb.197:                              ;   in Loop: Header=BB2_71 Depth=2
	v_mov_b32_e32 v32, 0
	v_cmp_ne_u32_e32 vcc, 0, v27
	s_and_saveexec_b64 s[78:79], vcc
	s_cbranch_execz .LBB2_205
; %bb.198:                              ;   in Loop: Header=BB2_71 Depth=2
	v_bfe_u32 v32, v27, 23, 8
	v_cmp_gt_u32_e64 s[18:19], s49, v32
	v_sub_u32_e32 v27, 0x71, v32
	v_cmp_eq_u32_e32 vcc, 0, v32
	v_cndmask_b32_e64 v27, 0, v27, s[18:19]
	v_cndmask_b32_e32 v33, v27, v12, vcc
	v_or_b32_e32 v28, 0x800000, v19
	v_add_u32_e32 v27, 21, v33
	v_cndmask_b32_e32 v19, v28, v19, vcc
	v_lshlrev_b64 v[27:28], v27, -1
	v_add_u32_e32 v36, 20, v33
	v_bfi_b32 v27, v27, 0, v19
	v_lshlrev_b64 v[36:37], v36, 1
	v_lshrrev_b64 v[19:20], v33, v[19:20]
	v_bfi_b32 v28, v28, 0, 0
	v_cmp_eq_u64_e64 s[18:19], v[27:28], v[36:37]
	v_mov_b32_e32 v28, v20
	v_mov_b32_e32 v27, v19
	s_and_saveexec_b64 s[88:89], s[18:19]
; %bb.199:                              ;   in Loop: Header=BB2_71 Depth=2
	v_bfe_u32 v20, v19, 21, 1
	v_add_co_u32_e64 v20, s[18:19], v19, v20
	v_add_co_u32_e64 v27, s[18:19], -1, v20
; %bb.200:                              ;   in Loop: Header=BB2_71 Depth=2
	s_or_b64 exec, exec, s[88:89]
	v_add_u32_e32 v20, 0xffffff81, v32
	v_cndmask_b32_e32 v20, v20, v48, vcc
	v_lshrrev_b32_e32 v28, 23, v19
	v_add3_u32 v32, v33, v20, v28
	v_add_u32_e32 v28, 14, v32
	v_and_b32_e32 v20, 0x1fffff, v27
	v_add_u32_e32 v19, v20, v19
	v_mov_b32_e32 v20, v3
	v_cmp_ne_u32_e32 vcc, 0, v28
                                        ; implicit-def: $vgpr27
	s_and_saveexec_b64 s[18:19], vcc
	s_xor_b64 s[18:19], exec, s[18:19]
; %bb.201:                              ;   in Loop: Header=BB2_71 Depth=2
	v_cmp_lt_u64_e32 vcc, s[60:61], v[19:20]
	v_add_u32_e32 v27, 15, v32
	v_cndmask_b32_e32 v27, v28, v27, vcc
	v_cndmask_b32_e64 v28, 0, 1, vcc
	v_lshrrev_b64 v[19:20], v28, v[19:20]
; %bb.202:                              ;   in Loop: Header=BB2_71 Depth=2
	s_andn2_saveexec_b64 s[18:19], s[18:19]
; %bb.203:                              ;   in Loop: Header=BB2_71 Depth=2
	v_bfe_u32 v27, v19, 23, 1
; %bb.204:                              ;   in Loop: Header=BB2_71 Depth=2
	s_or_b64 exec, exec, s[18:19]
	v_lshrrev_b64 v[19:20], 21, v[19:20]
	v_cmp_gt_i32_e32 vcc, 32, v27
	v_cndmask_b32_e32 v20, 0, v20, vcc
	v_cndmask_b32_e32 v19, 3, v19, vcc
	v_cmp_eq_u64_e64 s[18:19], 0, v[19:20]
	v_min_i32_e32 v20, 31, v27
	v_lshlrev_b32_e32 v20, 2, v20
	v_cmp_eq_u32_e32 vcc, 0, v27
	v_and_b32_e32 v20, 0xfc, v20
	v_and_or_b32 v19, v19, 3, v20
	s_and_b64 s[18:19], vcc, s[18:19]
	v_cndmask_b32_e64 v19, v19, 0, s[18:19]
	v_or_b32_e32 v32, v19, v0
.LBB2_205:                              ;   in Loop: Header=BB2_71 Depth=2
	s_or_b64 exec, exec, s[78:79]
                                        ; implicit-def: $vgpr0
.LBB2_206:                              ;   in Loop: Header=BB2_71 Depth=2
	s_andn2_saveexec_b64 s[18:19], s[76:77]
; %bb.207:                              ;   in Loop: Header=BB2_71 Depth=2
	v_or_b32_e32 v32, 0x7b, v0
; %bb.208:                              ;   in Loop: Header=BB2_71 Depth=2
	s_or_b64 exec, exec, s[18:19]
                                        ; implicit-def: $vgpr27
                                        ; implicit-def: $vgpr19_vgpr20
.LBB2_209:                              ;   in Loop: Header=BB2_71 Depth=2
	s_andn2_saveexec_b64 s[18:19], s[74:75]
	s_cbranch_execz .LBB2_215
; %bb.210:                              ;   in Loop: Header=BB2_71 Depth=2
	v_cmp_ne_u64_e32 vcc, 0, v[19:20]
                                        ; implicit-def: $vgpr32
	s_and_saveexec_b64 s[74:75], vcc
	s_xor_b64 s[74:75], exec, s[74:75]
; %bb.211:                              ;   in Loop: Header=BB2_71 Depth=2
	v_or_b32_sdwa v32, v27, s50 dst_sel:DWORD dst_unused:UNUSED_PAD src0_sel:BYTE_3 src1_sel:DWORD
                                        ; implicit-def: $vgpr27
; %bb.212:                              ;   in Loop: Header=BB2_71 Depth=2
	s_andn2_saveexec_b64 s[74:75], s[74:75]
; %bb.213:                              ;   in Loop: Header=BB2_71 Depth=2
	v_cmp_lt_i32_e32 vcc, -1, v27
	v_cndmask_b32_e32 v32, v49, v11, vcc
; %bb.214:                              ;   in Loop: Header=BB2_71 Depth=2
	s_or_b64 exec, exec, s[74:75]
.LBB2_215:                              ;   in Loop: Header=BB2_71 Depth=2
	s_or_b64 exec, exec, s[18:19]
	v_lshrrev_b16_e32 v19, 8, v2
	v_cmp_ne_u16_e32 vcc, 0, v19
	v_mov_b32_e32 v0, 0
	s_and_saveexec_b64 s[18:19], vcc
	s_cbranch_execz .LBB2_223
; %bb.216:                              ;   in Loop: Header=BB2_71 Depth=2
	v_cmp_ne_u16_e32 vcc, s48, v19
	v_bfrev_b32_e32 v0, 1
	s_and_saveexec_b64 s[74:75], vcc
	s_cbranch_execz .LBB2_222
; %bb.217:                              ;   in Loop: Header=BB2_71 Depth=2
	v_and_b32_e32 v0, 0x7c, v19
	v_and_b32_e32 v27, 3, v19
	v_cmp_ne_u32_e32 vcc, s39, v0
                                        ; implicit-def: $vgpr0
	s_and_saveexec_b64 s[76:77], vcc
	s_xor_b64 s[76:77], exec, s[76:77]
	s_cbranch_execz .LBB2_219
; %bb.218:                              ;   in Loop: Header=BB2_71 Depth=2
	v_ffbh_u32_e32 v28, v27
	v_min_u32_e32 v28, 32, v28
	v_mov_b32_e32 v20, v3
	v_subrev_u32_e32 v33, 29, v28
	v_bfe_u32 v0, v19, 2, 5
	v_lshlrev_b64 v[19:20], v33, v[19:20]
	v_sub_u32_e32 v20, 30, v28
	v_cmp_eq_u32_e32 vcc, 0, v0
	v_cndmask_b32_e32 v0, v0, v20, vcc
	v_lshlrev_b32_e32 v20, 16, v2
	v_and_b32_e32 v19, 3, v19
	v_and_b32_e32 v20, 0x80000000, v20
	v_cndmask_b32_e32 v19, v27, v19, vcc
	v_lshl_add_u32 v0, v0, 23, v20
	v_lshl_or_b32 v0, v19, 21, v0
	v_add_u32_e32 v0, 0x38000000, v0
                                        ; implicit-def: $vgpr27
.LBB2_219:                              ;   in Loop: Header=BB2_71 Depth=2
	s_andn2_saveexec_b64 s[76:77], s[76:77]
; %bb.220:                              ;   in Loop: Header=BB2_71 Depth=2
	v_cmp_lt_i16_e32 vcc, -1, v2
	v_cndmask_b32_e32 v0, v8, v54, vcc
	v_cmp_eq_u32_e32 vcc, 0, v27
	v_cndmask_b32_e32 v0, v55, v0, vcc
; %bb.221:                              ;   in Loop: Header=BB2_71 Depth=2
	s_or_b64 exec, exec, s[76:77]
.LBB2_222:                              ;   in Loop: Header=BB2_71 Depth=2
	s_or_b64 exec, exec, s[74:75]
.LBB2_223:                              ;   in Loop: Header=BB2_71 Depth=2
	s_or_b64 exec, exec, s[18:19]
	v_mul_f32_e32 v27, v62, v0
	v_and_b32_e32 v36, 0x7f800000, v27
	v_mov_b32_e32 v37, v3
	v_cmp_ne_u64_e32 vcc, s[56:57], v[36:37]
	v_and_b32_e32 v19, 0x7fffff, v27
	v_mov_b32_e32 v20, v3
                                        ; implicit-def: $vgpr33
	s_and_saveexec_b64 s[18:19], vcc
	s_xor_b64 s[74:75], exec, s[18:19]
	s_cbranch_execz .LBB2_237
; %bb.224:                              ;   in Loop: Header=BB2_71 Depth=2
	v_and_b32_e32 v36, 0x7fffffff, v27
	v_mov_b32_e32 v37, v3
	v_cmp_gt_u64_e32 vcc, s[58:59], v[36:37]
	v_and_b32_sdwa v0, v27, s48 dst_sel:DWORD dst_unused:UNUSED_PAD src0_sel:BYTE_3 src1_sel:DWORD
                                        ; implicit-def: $vgpr33
	s_and_saveexec_b64 s[18:19], vcc
	s_xor_b64 s[76:77], exec, s[18:19]
	s_cbranch_execz .LBB2_234
; %bb.225:                              ;   in Loop: Header=BB2_71 Depth=2
	v_mov_b32_e32 v33, 0
	v_cmp_ne_u32_e32 vcc, 0, v27
	s_and_saveexec_b64 s[78:79], vcc
	s_cbranch_execz .LBB2_233
; %bb.226:                              ;   in Loop: Header=BB2_71 Depth=2
	v_bfe_u32 v33, v27, 23, 8
	v_cmp_gt_u32_e64 s[18:19], s49, v33
	v_sub_u32_e32 v27, 0x71, v33
	v_cmp_eq_u32_e32 vcc, 0, v33
	v_cndmask_b32_e64 v27, 0, v27, s[18:19]
	v_cndmask_b32_e32 v36, v27, v12, vcc
	v_or_b32_e32 v28, 0x800000, v19
	v_add_u32_e32 v27, 21, v36
	v_cndmask_b32_e32 v19, v28, v19, vcc
	v_lshlrev_b64 v[27:28], v27, -1
	v_add_u32_e32 v37, 20, v36
	v_bfi_b32 v27, v27, 0, v19
	v_lshlrev_b64 v[37:38], v37, 1
	v_lshrrev_b64 v[19:20], v36, v[19:20]
	v_bfi_b32 v28, v28, 0, 0
	v_cmp_eq_u64_e64 s[18:19], v[27:28], v[37:38]
	v_mov_b32_e32 v28, v20
	v_mov_b32_e32 v27, v19
	s_and_saveexec_b64 s[88:89], s[18:19]
; %bb.227:                              ;   in Loop: Header=BB2_71 Depth=2
	v_bfe_u32 v20, v19, 21, 1
	v_add_co_u32_e64 v20, s[18:19], v19, v20
	v_add_co_u32_e64 v27, s[18:19], -1, v20
; %bb.228:                              ;   in Loop: Header=BB2_71 Depth=2
	s_or_b64 exec, exec, s[88:89]
	v_add_u32_e32 v20, 0xffffff81, v33
	v_cndmask_b32_e32 v20, v20, v48, vcc
	v_lshrrev_b32_e32 v28, 23, v19
	v_add3_u32 v33, v36, v20, v28
	v_add_u32_e32 v28, 14, v33
	v_and_b32_e32 v20, 0x1fffff, v27
	v_add_u32_e32 v19, v20, v19
	v_mov_b32_e32 v20, v3
	v_cmp_ne_u32_e32 vcc, 0, v28
                                        ; implicit-def: $vgpr27
	s_and_saveexec_b64 s[18:19], vcc
	s_xor_b64 s[18:19], exec, s[18:19]
; %bb.229:                              ;   in Loop: Header=BB2_71 Depth=2
	v_cmp_lt_u64_e32 vcc, s[60:61], v[19:20]
	v_add_u32_e32 v27, 15, v33
	v_cndmask_b32_e32 v27, v28, v27, vcc
	v_cndmask_b32_e64 v28, 0, 1, vcc
	v_lshrrev_b64 v[19:20], v28, v[19:20]
; %bb.230:                              ;   in Loop: Header=BB2_71 Depth=2
	s_andn2_saveexec_b64 s[18:19], s[18:19]
; %bb.231:                              ;   in Loop: Header=BB2_71 Depth=2
	v_bfe_u32 v27, v19, 23, 1
; %bb.232:                              ;   in Loop: Header=BB2_71 Depth=2
	s_or_b64 exec, exec, s[18:19]
	v_lshrrev_b64 v[19:20], 21, v[19:20]
	v_cmp_gt_i32_e32 vcc, 32, v27
	v_cndmask_b32_e32 v20, 0, v20, vcc
	v_cndmask_b32_e32 v19, 3, v19, vcc
	v_cmp_eq_u64_e64 s[18:19], 0, v[19:20]
	v_min_i32_e32 v20, 31, v27
	v_lshlrev_b32_e32 v20, 2, v20
	v_cmp_eq_u32_e32 vcc, 0, v27
	v_and_b32_e32 v20, 0xfc, v20
	v_and_or_b32 v19, v19, 3, v20
	s_and_b64 s[18:19], vcc, s[18:19]
	v_cndmask_b32_e64 v19, v19, 0, s[18:19]
	v_or_b32_e32 v33, v19, v0
.LBB2_233:                              ;   in Loop: Header=BB2_71 Depth=2
	s_or_b64 exec, exec, s[78:79]
                                        ; implicit-def: $vgpr0
.LBB2_234:                              ;   in Loop: Header=BB2_71 Depth=2
	s_andn2_saveexec_b64 s[18:19], s[76:77]
; %bb.235:                              ;   in Loop: Header=BB2_71 Depth=2
	v_or_b32_e32 v33, 0x7b, v0
; %bb.236:                              ;   in Loop: Header=BB2_71 Depth=2
	s_or_b64 exec, exec, s[18:19]
                                        ; implicit-def: $vgpr27
                                        ; implicit-def: $vgpr19_vgpr20
.LBB2_237:                              ;   in Loop: Header=BB2_71 Depth=2
	s_andn2_saveexec_b64 s[18:19], s[74:75]
	s_cbranch_execz .LBB2_243
; %bb.238:                              ;   in Loop: Header=BB2_71 Depth=2
	v_cmp_ne_u64_e32 vcc, 0, v[19:20]
                                        ; implicit-def: $vgpr33
	s_and_saveexec_b64 s[74:75], vcc
	s_xor_b64 s[74:75], exec, s[74:75]
; %bb.239:                              ;   in Loop: Header=BB2_71 Depth=2
	v_or_b32_sdwa v33, v27, s50 dst_sel:DWORD dst_unused:UNUSED_PAD src0_sel:BYTE_3 src1_sel:DWORD
                                        ; implicit-def: $vgpr27
; %bb.240:                              ;   in Loop: Header=BB2_71 Depth=2
	s_andn2_saveexec_b64 s[74:75], s[74:75]
; %bb.241:                              ;   in Loop: Header=BB2_71 Depth=2
	v_cmp_lt_i32_e32 vcc, -1, v27
	v_cndmask_b32_e32 v33, v49, v11, vcc
; %bb.242:                              ;   in Loop: Header=BB2_71 Depth=2
	s_or_b64 exec, exec, s[74:75]
.LBB2_243:                              ;   in Loop: Header=BB2_71 Depth=2
	s_or_b64 exec, exec, s[18:19]
	v_and_b32_sdwa v20, v2, s37 dst_sel:DWORD dst_unused:UNUSED_PAD src0_sel:WORD_1 src1_sel:DWORD
	v_lshrrev_b32_e32 v0, 16, v2
	v_cmp_ne_u16_e32 vcc, 0, v20
	v_mov_b32_e32 v19, 0
	s_and_saveexec_b64 s[18:19], vcc
	s_cbranch_execz .LBB2_251
; %bb.244:                              ;   in Loop: Header=BB2_71 Depth=2
	v_cmp_ne_u16_e32 vcc, s48, v20
	v_bfrev_b32_e32 v19, 1
	s_and_saveexec_b64 s[74:75], vcc
	s_cbranch_execz .LBB2_250
; %bb.245:                              ;   in Loop: Header=BB2_71 Depth=2
	v_and_b32_e32 v19, 0x7c0000, v2
	v_bfe_u32 v20, v2, 16, 2
	v_cmp_ne_u32_e32 vcc, s51, v19
                                        ; implicit-def: $vgpr19
	s_and_saveexec_b64 s[76:77], vcc
	s_xor_b64 s[76:77], exec, s[76:77]
	s_cbranch_execz .LBB2_247
; %bb.246:                              ;   in Loop: Header=BB2_71 Depth=2
	v_ffbh_u32_e32 v27, v20
	v_min_u32_e32 v36, 32, v27
	v_subrev_u32_e32 v27, 29, v36
	v_lshlrev_b64 v[27:28], v27, v[0:1]
	v_bfe_u32 v19, v2, 18, 5
	v_sub_u32_e32 v0, 30, v36
	v_and_b32_e32 v27, 3, v27
	v_cmp_eq_u32_e32 vcc, 0, v19
	v_cndmask_b32_e32 v0, v19, v0, vcc
	v_cndmask_b32_e32 v19, v20, v27, vcc
	v_lshlrev_b32_e32 v20, 8, v2
	v_and_b32_e32 v20, 0x80000000, v20
	v_lshl_add_u32 v0, v0, 23, v20
	v_lshl_or_b32 v0, v19, 21, v0
	v_add_u32_e32 v19, 0x38000000, v0
                                        ; implicit-def: $vgpr20
                                        ; implicit-def: $vgpr0
.LBB2_247:                              ;   in Loop: Header=BB2_71 Depth=2
	s_andn2_saveexec_b64 s[76:77], s[76:77]
; %bb.248:                              ;   in Loop: Header=BB2_71 Depth=2
	v_cmp_gt_i16_sdwa vcc, sext(v0), v7 src0_sel:BYTE_0 src1_sel:DWORD
	v_cndmask_b32_e32 v0, v8, v54, vcc
	v_cmp_eq_u32_e32 vcc, 0, v20
	v_cndmask_b32_e32 v19, v55, v0, vcc
; %bb.249:                              ;   in Loop: Header=BB2_71 Depth=2
	s_or_b64 exec, exec, s[76:77]
.LBB2_250:                              ;   in Loop: Header=BB2_71 Depth=2
	s_or_b64 exec, exec, s[74:75]
.LBB2_251:                              ;   in Loop: Header=BB2_71 Depth=2
	s_or_b64 exec, exec, s[18:19]
	v_mul_f32_e32 v27, v62, v19
	v_and_b32_e32 v36, 0x7f800000, v27
	v_mov_b32_e32 v37, v3
	v_cmp_ne_u64_e32 vcc, s[56:57], v[36:37]
	v_and_b32_e32 v19, 0x7fffff, v27
	v_mov_b32_e32 v20, v3
                                        ; implicit-def: $vgpr36
	s_and_saveexec_b64 s[18:19], vcc
	s_xor_b64 s[74:75], exec, s[18:19]
	s_cbranch_execz .LBB2_265
; %bb.252:                              ;   in Loop: Header=BB2_71 Depth=2
	v_and_b32_e32 v36, 0x7fffffff, v27
	v_mov_b32_e32 v37, v3
	v_cmp_gt_u64_e32 vcc, s[58:59], v[36:37]
	v_and_b32_sdwa v0, v27, s48 dst_sel:DWORD dst_unused:UNUSED_PAD src0_sel:BYTE_3 src1_sel:DWORD
                                        ; implicit-def: $vgpr36
	s_and_saveexec_b64 s[18:19], vcc
	s_xor_b64 s[76:77], exec, s[18:19]
	s_cbranch_execz .LBB2_262
; %bb.253:                              ;   in Loop: Header=BB2_71 Depth=2
	v_mov_b32_e32 v36, 0
	v_cmp_ne_u32_e32 vcc, 0, v27
	s_and_saveexec_b64 s[78:79], vcc
	s_cbranch_execz .LBB2_261
; %bb.254:                              ;   in Loop: Header=BB2_71 Depth=2
	v_bfe_u32 v36, v27, 23, 8
	v_cmp_gt_u32_e64 s[18:19], s49, v36
	v_sub_u32_e32 v27, 0x71, v36
	v_cmp_eq_u32_e32 vcc, 0, v36
	v_cndmask_b32_e64 v27, 0, v27, s[18:19]
	v_cndmask_b32_e32 v37, v27, v12, vcc
	v_or_b32_e32 v28, 0x800000, v19
	v_add_u32_e32 v27, 21, v37
	v_cndmask_b32_e32 v19, v28, v19, vcc
	v_lshlrev_b64 v[27:28], v27, -1
	v_add_u32_e32 v38, 20, v37
	v_bfi_b32 v27, v27, 0, v19
	v_lshlrev_b64 v[38:39], v38, 1
	v_lshrrev_b64 v[19:20], v37, v[19:20]
	v_bfi_b32 v28, v28, 0, 0
	v_cmp_eq_u64_e64 s[18:19], v[27:28], v[38:39]
	v_mov_b32_e32 v28, v20
	v_mov_b32_e32 v27, v19
	s_and_saveexec_b64 s[88:89], s[18:19]
; %bb.255:                              ;   in Loop: Header=BB2_71 Depth=2
	v_bfe_u32 v20, v19, 21, 1
	v_add_co_u32_e64 v20, s[18:19], v19, v20
	v_add_co_u32_e64 v27, s[18:19], -1, v20
; %bb.256:                              ;   in Loop: Header=BB2_71 Depth=2
	s_or_b64 exec, exec, s[88:89]
	v_add_u32_e32 v20, 0xffffff81, v36
	v_cndmask_b32_e32 v20, v20, v48, vcc
	v_lshrrev_b32_e32 v28, 23, v19
	v_add3_u32 v36, v37, v20, v28
	v_add_u32_e32 v28, 14, v36
	v_and_b32_e32 v20, 0x1fffff, v27
	v_add_u32_e32 v19, v20, v19
	v_mov_b32_e32 v20, v3
	v_cmp_ne_u32_e32 vcc, 0, v28
                                        ; implicit-def: $vgpr27
	s_and_saveexec_b64 s[18:19], vcc
	s_xor_b64 s[18:19], exec, s[18:19]
; %bb.257:                              ;   in Loop: Header=BB2_71 Depth=2
	v_cmp_lt_u64_e32 vcc, s[60:61], v[19:20]
	v_add_u32_e32 v27, 15, v36
	v_cndmask_b32_e32 v27, v28, v27, vcc
	v_cndmask_b32_e64 v28, 0, 1, vcc
	v_lshrrev_b64 v[19:20], v28, v[19:20]
; %bb.258:                              ;   in Loop: Header=BB2_71 Depth=2
	s_andn2_saveexec_b64 s[18:19], s[18:19]
; %bb.259:                              ;   in Loop: Header=BB2_71 Depth=2
	v_bfe_u32 v27, v19, 23, 1
; %bb.260:                              ;   in Loop: Header=BB2_71 Depth=2
	s_or_b64 exec, exec, s[18:19]
	v_lshrrev_b64 v[19:20], 21, v[19:20]
	v_cmp_gt_i32_e32 vcc, 32, v27
	v_cndmask_b32_e32 v20, 0, v20, vcc
	v_cndmask_b32_e32 v19, 3, v19, vcc
	v_cmp_eq_u64_e64 s[18:19], 0, v[19:20]
	v_min_i32_e32 v20, 31, v27
	v_lshlrev_b32_e32 v20, 2, v20
	v_cmp_eq_u32_e32 vcc, 0, v27
	v_and_b32_e32 v20, 0xfc, v20
	v_and_or_b32 v19, v19, 3, v20
	s_and_b64 s[18:19], vcc, s[18:19]
	v_cndmask_b32_e64 v19, v19, 0, s[18:19]
	v_or_b32_e32 v36, v19, v0
.LBB2_261:                              ;   in Loop: Header=BB2_71 Depth=2
	s_or_b64 exec, exec, s[78:79]
                                        ; implicit-def: $vgpr0
.LBB2_262:                              ;   in Loop: Header=BB2_71 Depth=2
	s_andn2_saveexec_b64 s[18:19], s[76:77]
; %bb.263:                              ;   in Loop: Header=BB2_71 Depth=2
	v_or_b32_e32 v36, 0x7b, v0
; %bb.264:                              ;   in Loop: Header=BB2_71 Depth=2
	s_or_b64 exec, exec, s[18:19]
                                        ; implicit-def: $vgpr27
                                        ; implicit-def: $vgpr19_vgpr20
.LBB2_265:                              ;   in Loop: Header=BB2_71 Depth=2
	s_andn2_saveexec_b64 s[18:19], s[74:75]
	s_cbranch_execz .LBB2_271
; %bb.266:                              ;   in Loop: Header=BB2_71 Depth=2
	v_cmp_ne_u64_e32 vcc, 0, v[19:20]
                                        ; implicit-def: $vgpr36
	s_and_saveexec_b64 s[74:75], vcc
	s_xor_b64 s[74:75], exec, s[74:75]
; %bb.267:                              ;   in Loop: Header=BB2_71 Depth=2
	v_or_b32_sdwa v36, v27, s50 dst_sel:DWORD dst_unused:UNUSED_PAD src0_sel:BYTE_3 src1_sel:DWORD
                                        ; implicit-def: $vgpr27
; %bb.268:                              ;   in Loop: Header=BB2_71 Depth=2
	s_andn2_saveexec_b64 s[74:75], s[74:75]
; %bb.269:                              ;   in Loop: Header=BB2_71 Depth=2
	v_cmp_lt_i32_e32 vcc, -1, v27
	v_cndmask_b32_e32 v36, v49, v11, vcc
; %bb.270:                              ;   in Loop: Header=BB2_71 Depth=2
	s_or_b64 exec, exec, s[74:75]
.LBB2_271:                              ;   in Loop: Header=BB2_71 Depth=2
	s_or_b64 exec, exec, s[18:19]
	v_cmp_lt_u32_e32 vcc, s47, v2
	v_mov_b32_e32 v19, 0
	s_and_saveexec_b64 s[18:19], vcc
	s_cbranch_execz .LBB2_279
; %bb.272:                              ;   in Loop: Header=BB2_71 Depth=2
	v_lshrrev_b32_e32 v0, 24, v2
	v_cmp_ne_u32_e32 vcc, s48, v0
	v_bfrev_b32_e32 v19, 1
	s_and_saveexec_b64 s[74:75], vcc
	s_cbranch_execz .LBB2_278
; %bb.273:                              ;   in Loop: Header=BB2_71 Depth=2
	v_and_b32_e32 v19, 0x7c000000, v2
	v_bfe_u32 v20, v2, 24, 2
	v_cmp_ne_u32_e32 vcc, s52, v19
                                        ; implicit-def: $vgpr19
	s_and_saveexec_b64 s[76:77], vcc
	s_xor_b64 s[76:77], exec, s[76:77]
	s_cbranch_execz .LBB2_275
; %bb.274:                              ;   in Loop: Header=BB2_71 Depth=2
	v_ffbh_u32_e32 v27, v20
	v_min_u32_e32 v37, 32, v27
	v_subrev_u32_e32 v27, 29, v37
	v_bfe_u32 v19, v2, 26, 5
	v_lshlrev_b64 v[27:28], v27, v[0:1]
	v_sub_u32_e32 v0, 30, v37
	v_cmp_eq_u32_e32 vcc, 0, v19
	v_and_b32_e32 v27, 3, v27
	v_cndmask_b32_e32 v0, v19, v0, vcc
	v_and_b32_e32 v2, 0x80000000, v2
	v_cndmask_b32_e32 v19, v20, v27, vcc
	v_lshl_add_u32 v0, v0, 23, v2
	v_lshl_or_b32 v0, v19, 21, v0
	v_add_u32_e32 v19, 0x38000000, v0
                                        ; implicit-def: $vgpr20
.LBB2_275:                              ;   in Loop: Header=BB2_71 Depth=2
	s_andn2_saveexec_b64 s[76:77], s[76:77]
; %bb.276:                              ;   in Loop: Header=BB2_71 Depth=2
	v_cmp_lt_i32_e32 vcc, -1, v2
	v_cndmask_b32_e32 v0, v8, v54, vcc
	v_cmp_eq_u32_e32 vcc, 0, v20
	v_cndmask_b32_e32 v19, v55, v0, vcc
; %bb.277:                              ;   in Loop: Header=BB2_71 Depth=2
	s_or_b64 exec, exec, s[76:77]
.LBB2_278:                              ;   in Loop: Header=BB2_71 Depth=2
	s_or_b64 exec, exec, s[74:75]
.LBB2_279:                              ;   in Loop: Header=BB2_71 Depth=2
	s_or_b64 exec, exec, s[18:19]
	v_mul_f32_e32 v20, v62, v19
	v_and_b32_e32 v27, 0x7f800000, v20
	v_mov_b32_e32 v28, v3
	v_cmp_ne_u64_e32 vcc, s[56:57], v[27:28]
	v_and_b32_e32 v2, 0x7fffff, v20
                                        ; implicit-def: $vgpr19
	s_and_saveexec_b64 s[18:19], vcc
	s_xor_b64 s[74:75], exec, s[18:19]
	s_cbranch_execz .LBB2_293
; %bb.280:                              ;   in Loop: Header=BB2_71 Depth=2
	v_and_b32_e32 v27, 0x7fffffff, v20
	v_mov_b32_e32 v28, v3
	v_cmp_gt_u64_e32 vcc, s[58:59], v[27:28]
	v_and_b32_sdwa v0, v20, s48 dst_sel:DWORD dst_unused:UNUSED_PAD src0_sel:BYTE_3 src1_sel:DWORD
                                        ; implicit-def: $vgpr19
	s_and_saveexec_b64 s[18:19], vcc
	s_xor_b64 s[76:77], exec, s[18:19]
	s_cbranch_execz .LBB2_290
; %bb.281:                              ;   in Loop: Header=BB2_71 Depth=2
	v_mov_b32_e32 v19, 0
	v_cmp_ne_u32_e32 vcc, 0, v20
	s_and_saveexec_b64 s[78:79], vcc
	s_cbranch_execz .LBB2_289
; %bb.282:                              ;   in Loop: Header=BB2_71 Depth=2
	v_bfe_u32 v37, v20, 23, 8
	v_cmp_gt_u32_e64 s[18:19], s49, v37
	v_sub_u32_e32 v19, 0x71, v37
	v_cmp_eq_u32_e32 vcc, 0, v37
	v_cndmask_b32_e64 v19, 0, v19, s[18:19]
	v_cndmask_b32_e32 v42, v19, v12, vcc
	v_or_b32_e32 v20, 0x800000, v2
	v_add_u32_e32 v19, 21, v42
	v_cndmask_b32_e32 v2, v20, v2, vcc
	v_lshlrev_b64 v[19:20], v19, -1
	v_add_u32_e32 v27, 20, v42
	v_lshlrev_b64 v[27:28], v27, 1
	v_bfi_b32 v20, v20, 0, 0
	v_bfi_b32 v19, v19, 0, v2
	v_cmp_eq_u64_e64 s[18:19], v[19:20], v[27:28]
	v_lshrrev_b64 v[19:20], v42, v[2:3]
	v_mov_b32_e32 v28, v20
	v_mov_b32_e32 v27, v19
	s_and_saveexec_b64 s[88:89], s[18:19]
; %bb.283:                              ;   in Loop: Header=BB2_71 Depth=2
	v_bfe_u32 v2, v19, 21, 1
	v_add_co_u32_e64 v2, s[18:19], v19, v2
	v_add_co_u32_e64 v27, s[18:19], -1, v2
; %bb.284:                              ;   in Loop: Header=BB2_71 Depth=2
	s_or_b64 exec, exec, s[88:89]
	v_add_u32_e32 v2, 0xffffff81, v37
	v_cndmask_b32_e32 v2, v2, v48, vcc
	v_lshrrev_b32_e32 v20, 23, v19
	v_add3_u32 v37, v42, v2, v20
	v_add_u32_e32 v28, 14, v37
	v_and_b32_e32 v2, 0x1fffff, v27
	v_add_u32_e32 v2, v2, v19
	v_cmp_ne_u32_e32 vcc, 0, v28
                                        ; implicit-def: $vgpr19_vgpr20
                                        ; implicit-def: $vgpr27
	s_and_saveexec_b64 s[18:19], vcc
	s_xor_b64 s[18:19], exec, s[18:19]
; %bb.285:                              ;   in Loop: Header=BB2_71 Depth=2
	v_cmp_lt_u64_e32 vcc, s[60:61], v[2:3]
	v_add_u32_e32 v19, 15, v37
	v_cndmask_b32_e32 v27, v28, v19, vcc
	v_cndmask_b32_e64 v19, 0, 1, vcc
	v_lshrrev_b64 v[19:20], v19, v[2:3]
; %bb.286:                              ;   in Loop: Header=BB2_71 Depth=2
	s_andn2_saveexec_b64 s[18:19], s[18:19]
; %bb.287:                              ;   in Loop: Header=BB2_71 Depth=2
	v_mov_b32_e32 v20, v3
	v_bfe_u32 v27, v2, 23, 1
	v_mov_b32_e32 v19, v2
; %bb.288:                              ;   in Loop: Header=BB2_71 Depth=2
	s_or_b64 exec, exec, s[18:19]
	v_lshrrev_b64 v[19:20], 21, v[19:20]
	v_cmp_gt_i32_e32 vcc, 32, v27
	v_cndmask_b32_e32 v20, 0, v20, vcc
	v_cndmask_b32_e32 v19, 3, v19, vcc
	v_min_i32_e32 v2, 31, v27
	v_cmp_eq_u64_e64 s[18:19], 0, v[19:20]
	v_lshlrev_b32_e32 v2, 2, v2
	v_cmp_eq_u32_e32 vcc, 0, v27
	v_and_b32_e32 v2, 0xfc, v2
	v_and_or_b32 v2, v19, 3, v2
	s_and_b64 s[18:19], vcc, s[18:19]
	v_cndmask_b32_e64 v2, v2, 0, s[18:19]
	v_or_b32_e32 v19, v2, v0
.LBB2_289:                              ;   in Loop: Header=BB2_71 Depth=2
	s_or_b64 exec, exec, s[78:79]
                                        ; implicit-def: $vgpr0
.LBB2_290:                              ;   in Loop: Header=BB2_71 Depth=2
	s_andn2_saveexec_b64 s[18:19], s[76:77]
; %bb.291:                              ;   in Loop: Header=BB2_71 Depth=2
	v_or_b32_e32 v19, 0x7b, v0
; %bb.292:                              ;   in Loop: Header=BB2_71 Depth=2
	s_or_b64 exec, exec, s[18:19]
                                        ; implicit-def: $vgpr20
.LBB2_293:                              ;   in Loop: Header=BB2_71 Depth=2
	s_andn2_saveexec_b64 s[18:19], s[74:75]
	s_cbranch_execz .LBB2_70
; %bb.294:                              ;   in Loop: Header=BB2_71 Depth=2
	v_cmp_ne_u64_e32 vcc, 0, v[2:3]
                                        ; implicit-def: $vgpr19
	s_and_saveexec_b64 s[74:75], vcc
	s_xor_b64 s[74:75], exec, s[74:75]
; %bb.295:                              ;   in Loop: Header=BB2_71 Depth=2
	v_or_b32_sdwa v19, v20, s50 dst_sel:DWORD dst_unused:UNUSED_PAD src0_sel:BYTE_3 src1_sel:DWORD
                                        ; implicit-def: $vgpr20
; %bb.296:                              ;   in Loop: Header=BB2_71 Depth=2
	s_andn2_saveexec_b64 s[74:75], s[74:75]
	s_cbranch_execz .LBB2_69
; %bb.297:                              ;   in Loop: Header=BB2_71 Depth=2
	v_cmp_lt_i32_e32 vcc, -1, v20
	v_cndmask_b32_e32 v19, v49, v11, vcc
	s_branch .LBB2_69
.LBB2_298:                              ;   in Loop: Header=BB2_32 Depth=1
	s_or_b64 exec, exec, s[72:73]
.LBB2_299:                              ;   in Loop: Header=BB2_32 Depth=1
	s_or_b64 exec, exec, s[62:63]
	v_and_b32_e32 v2, 0x7ffffff8, v21
	v_cmp_eq_u64_e32 vcc, s[44:45], v[2:3]
	v_cmp_gt_i32_e64 s[18:19], s36, v29
	s_and_b64 s[18:19], vcc, s[18:19]
	s_and_saveexec_b64 s[62:63], s[18:19]
	s_cbranch_execz .LBB2_302
; %bb.300:                              ;   in Loop: Header=BB2_32 Depth=1
	v_mul_lo_u32 v19, v10, s36
	v_ashrrev_i32_e32 v30, 31, v29
	v_lshlrev_b64 v[23:24], 4, v[29:30]
	v_mov_b32_e32 v17, v3
	v_ashrrev_i32_e32 v20, 31, v19
	v_lshlrev_b64 v[19:20], 4, v[19:20]
	s_mov_b64 s[72:73], 0
	s_waitcnt lgkmcnt(0)
	v_add_co_u32_e32 v0, vcc, v23, v19
	v_addc_co_u32_e32 v2, vcc, v24, v20, vcc
	buffer_load_dword v19, off, s[0:3], s32 offset:76 ; 4-byte Folded Reload
	buffer_load_dword v20, off, s[0:3], s32 offset:80 ; 4-byte Folded Reload
	s_waitcnt vmcnt(1)
	v_add_co_u32_e32 v27, vcc, v19, v0
	s_waitcnt vmcnt(0)
	v_addc_co_u32_e32 v28, vcc, v20, v2, vcc
.LBB2_301:                              ;   Parent Loop BB2_32 Depth=1
                                        ; =>  This Inner Loop Header: Depth=2
	v_mov_b32_e32 v19, v17
	v_mov_b32_e32 v20, v18
	v_add_u32_e32 v29, v29, v1
	global_store_dwordx4 v[27:28], v[17:20], off
	v_add_co_u32_e32 v27, vcc, v27, v5
	v_cmp_le_i32_e64 s[18:19], s36, v29
	s_or_b64 s[72:73], s[18:19], s[72:73]
	v_addc_co_u32_e32 v28, vcc, v28, v6, vcc
	s_andn2_b64 exec, exec, s[72:73]
	s_cbranch_execnz .LBB2_301
.LBB2_302:                              ;   in Loop: Header=BB2_32 Depth=1
	s_or_b64 exec, exec, s[62:63]
	buffer_load_dword v17, off, s[0:3], s32 offset:156 ; 4-byte Folded Reload
	buffer_load_dword v18, off, s[0:3], s32 offset:160 ; 4-byte Folded Reload
	v_add_co_u32_e64 v46, s[18:19], 1, v21
	v_addc_co_u32_e64 v47, s[18:19], 0, v22, s[18:19]
	s_waitcnt vmcnt(0)
	v_add_co_u32_e32 v23, vcc, v58, v17
	buffer_store_dword v58, off, s[0:3], s32 offset:144 ; 4-byte Folded Spill
	s_nop 0
	buffer_store_dword v59, off, s[0:3], s32 offset:148 ; 4-byte Folded Spill
	v_addc_co_u32_e32 v24, vcc, v59, v18, vcc
	s_andn2_b64 vcc, exec, s[42:43]
	s_cbranch_vccnz .LBB2_896
; %bb.303:                              ;   in Loop: Header=BB2_32 Depth=1
	s_waitcnt lgkmcnt(0)
	buffer_load_dword v0, off, s[0:3], s32 offset:220 ; 4-byte Folded Reload
	v_add_u16_e32 v26, 1, v21
	s_mov_b32 s53, 2
	buffer_store_dword v23, off, s[0:3], s32 offset:196 ; 4-byte Folded Spill
	buffer_store_dword v24, off, s[0:3], s32 offset:200 ; 4-byte Folded Spill
	s_waitcnt vmcnt(2)
	v_add_co_u32_e32 v17, vcc, v0, v23
	buffer_load_dword v0, off, s[0:3], s32 offset:224 ; 4-byte Folded Reload
	s_waitcnt vmcnt(0)
	v_addc_co_u32_e32 v18, vcc, v0, v24, vcc
	buffer_store_dword v17, off, s[0:3], s32 offset:112 ; 4-byte Folded Spill
	s_nop 0
	buffer_store_dword v18, off, s[0:3], s32 offset:116 ; 4-byte Folded Spill
	s_branch .LBB2_305
.LBB2_304:                              ;   in Loop: Header=BB2_305 Depth=2
	s_or_b64 exec, exec, s[62:63]
	v_add_co_u32_e32 v34, vcc, 1, v34
	v_addc_co_u32_e32 v35, vcc, 0, v35, vcc
	s_add_i32 s53, s53, 1
	v_add_co_u32_e32 v46, vcc, 1, v46
	v_addc_co_u32_e32 v47, vcc, 0, v47, vcc
	s_cmp_eq_u32 s53, s20
	v_add_u16_e32 v26, 1, v26
	s_cbranch_scc1 .LBB2_897
.LBB2_305:                              ;   Parent Loop BB2_32 Depth=1
                                        ; =>  This Loop Header: Depth=2
                                        ;       Child Loop BB2_310 Depth 3
                                        ;       Child Loop BB2_329 Depth 3
	;; [unrolled: 1-line block ×3, first 2 shown]
                                        ;         Child Loop BB2_358 Depth 4
                                        ;       Child Loop BB2_885 Depth 3
                                        ;       Child Loop BB2_346 Depth 3
	s_sub_i32 s26, s20, s53
	s_lshl_b64 s[18:19], s[26:27], 2
	s_waitcnt lgkmcnt(0)
	v_mov_b32_e32 v0, s19
	v_add_co_u32_e32 v17, vcc, s18, v60
	v_addc_co_u32_e32 v18, vcc, v61, v0, vcc
	flat_load_dword v0, v[17:18]
	s_and_saveexec_b64 s[62:63], s[6:7]
	s_cbranch_execz .LBB2_321
; %bb.306:                              ;   in Loop: Header=BB2_305 Depth=2
	v_add_co_u32_e32 v17, vcc, 1, v15
	v_addc_co_u32_e32 v18, vcc, 0, v16, vcc
	v_add_co_u32_e32 v19, vcc, 8, v52
	v_addc_co_u32_e32 v20, vcc, 0, v53, vcc
	v_cmp_lt_u64_e32 vcc, v[19:20], v[17:18]
	s_and_saveexec_b64 s[72:73], vcc
	s_cbranch_execz .LBB2_318
; %bb.307:                              ;   in Loop: Header=BB2_305 Depth=2
	s_mov_b32 s26, 0
	v_cmp_eq_u32_e32 vcc, 0, v9
	s_mov_b64 s[74:75], 0
                                        ; implicit-def: $sgpr76_sgpr77
                                        ; implicit-def: $sgpr78_sgpr79
                                        ; implicit-def: $sgpr88_sgpr89
	s_branch .LBB2_310
.LBB2_308:                              ;   in Loop: Header=BB2_310 Depth=3
	s_or_b64 exec, exec, s[34:35]
	s_andn2_b64 s[18:19], s[88:89], exec
	s_and_b64 s[88:89], s[94:95], exec
	s_or_b64 s[88:89], s[18:19], s[88:89]
	s_andn2_b64 s[18:19], s[78:79], exec
	s_and_b64 s[78:79], s[92:93], exec
	s_or_b64 s[78:79], s[18:19], s[78:79]
.LBB2_309:                              ;   in Loop: Header=BB2_310 Depth=3
	s_or_b64 exec, exec, s[90:91]
	s_and_b64 s[18:19], exec, s[78:79]
	s_or_b64 s[74:75], s[18:19], s[74:75]
	s_andn2_b64 s[18:19], s[76:77], exec
	s_and_b64 s[76:77], s[88:89], exec
	s_or_b64 s[76:77], s[18:19], s[76:77]
	s_andn2_b64 exec, exec, s[74:75]
	s_cbranch_execz .LBB2_315
.LBB2_310:                              ;   Parent Loop BB2_32 Depth=1
                                        ;     Parent Loop BB2_305 Depth=2
                                        ; =>    This Inner Loop Header: Depth=3
	s_sleep 1
	s_waitcnt vmcnt(0) lgkmcnt(0)
	flat_load_dwordx2 v[52:53], v[50:51] glc
	v_mov_b32_e32 v9, 1
	s_or_b64 s[88:89], s[88:89], exec
	s_or_b64 s[78:79], s[78:79], exec
                                        ; implicit-def: $vgpr2
	s_and_saveexec_b64 s[90:91], vcc
	s_cbranch_execz .LBB2_309
; %bb.311:                              ;   in Loop: Header=BB2_310 Depth=3
	s_add_i32 s26, s26, 1
	s_cmpk_lg_i32 s26, 0x2710
	s_cselect_b64 s[30:31], -1, 0
	s_cmpk_eq_i32 s26, 0x2710
	s_mov_b64 s[92:93], -1
	s_mov_b64 s[94:95], -1
                                        ; implicit-def: $vgpr2
	s_cbranch_scc1 .LBB2_313
; %bb.312:                              ;   in Loop: Header=BB2_310 Depth=3
	v_mov_b32_e32 v9, 1
	s_and_saveexec_b64 s[34:35], s[30:31]
	s_cbranch_execz .LBB2_308
	s_branch .LBB2_314
.LBB2_313:                              ;   in Loop: Header=BB2_310 Depth=3
	s_trap 2
	s_waitcnt vmcnt(0) lgkmcnt(0)
	ds_read_b64 v[9:10], v0
	s_andn2_b64 s[30:31], s[30:31], exec
	s_mov_b32 s26, 0
	s_mov_b64 s[94:95], 0
	s_waitcnt lgkmcnt(0)
	flat_load_dword v2, v[9:10] glc
	s_waitcnt vmcnt(0) lgkmcnt(0)
	buffer_wbinvl1_vol
	v_cmp_eq_u32_e64 s[18:19], 0, v2
	s_and_b64 s[18:19], s[18:19], exec
	s_or_b64 s[30:31], s[30:31], s[18:19]
	v_mov_b32_e32 v9, 1
	s_and_saveexec_b64 s[34:35], s[30:31]
	s_cbranch_execz .LBB2_308
.LBB2_314:                              ;   in Loop: Header=BB2_310 Depth=3
	s_waitcnt vmcnt(0) lgkmcnt(0)
	v_add_co_u32_e64 v9, s[18:19], 8, v52
	v_addc_co_u32_e64 v10, s[18:19], 0, v53, s[18:19]
	v_cmp_ge_u64_e64 s[18:19], v[9:10], v[17:18]
	v_mov_b32_e32 v9, 0
	s_or_b64 s[94:95], s[94:95], exec
	s_orn2_b64 s[92:93], s[18:19], exec
	s_branch .LBB2_308
.LBB2_315:                              ;   in Loop: Header=BB2_305 Depth=2
	s_or_b64 exec, exec, s[74:75]
	s_xor_b64 s[18:19], s[76:77], -1
	s_and_saveexec_b64 s[74:75], s[18:19]
	s_xor_b64 s[18:19], exec, s[74:75]
	s_cbranch_execz .LBB2_317
; %bb.316:                              ;   in Loop: Header=BB2_305 Depth=2
	v_mov_b32_e32 v9, 1
	s_waitcnt vmcnt(0) lgkmcnt(0)
	ds_write_b32 v0, v2
	s_trap 2
.LBB2_317:                              ;   in Loop: Header=BB2_305 Depth=2
	s_or_b64 exec, exec, s[18:19]
.LBB2_318:                              ;   in Loop: Header=BB2_305 Depth=2
	s_or_b64 exec, exec, s[72:73]
	s_and_saveexec_b64 s[18:19], s[8:9]
	s_cbranch_execz .LBB2_320
; %bb.319:                              ;   in Loop: Header=BB2_305 Depth=2
	v_and_b32_e32 v2, 0x7ffffff8, v15
	v_cmp_eq_u64_e32 vcc, s[44:45], v[2:3]
	buffer_load_dword v2, off, s[0:3], s32 offset:128 ; 4-byte Folded Reload
	v_and_b32_e32 v10, 7, v15
	v_mad_u64_u32 v[15:16], s[72:73], v10, 24, v[13:14]
	v_mov_b32_e32 v10, s21
	s_waitcnt vmcnt(0)
	v_cndmask_b32_e32 v19, v2, v10, vcc
	v_ashrrev_i32_e32 v20, 31, v19
	flat_store_dwordx2 v[15:16], v[19:20] offset:8
	s_waitcnt vmcnt(0)
.LBB2_320:                              ;   in Loop: Header=BB2_305 Depth=2
	s_or_b64 exec, exec, s[18:19]
	v_mov_b32_e32 v15, v17
	v_mov_b32_e32 v16, v18
.LBB2_321:                              ;   in Loop: Header=BB2_305 Depth=2
	s_or_b64 exec, exec, s[62:63]
	s_and_saveexec_b64 s[18:19], s[10:11]
	s_cbranch_execz .LBB2_340
; %bb.322:                              ;   in Loop: Header=BB2_305 Depth=2
	s_and_saveexec_b64 s[62:63], s[40:41]
	s_xor_b64 s[62:63], exec, s[62:63]
	s_cbranch_execz .LBB2_337
; %bb.323:                              ;   in Loop: Header=BB2_305 Depth=2
	s_and_saveexec_b64 s[72:73], s[12:13]
	s_cbranch_execz .LBB2_336
; %bb.324:                              ;   in Loop: Header=BB2_305 Depth=2
	s_mov_b64 s[76:77], exec
	v_mbcnt_lo_u32_b32 v2, s76, 0
	v_mbcnt_hi_u32_b32 v2, s77, v2
	v_cmp_eq_u32_e32 vcc, 0, v2
	s_waitcnt vmcnt(0) lgkmcnt(0)
	buffer_wbinvl1_vol
	s_and_saveexec_b64 s[74:75], vcc
	s_cbranch_execz .LBB2_326
; %bb.325:                              ;   in Loop: Header=BB2_305 Depth=2
	s_bcnt1_i32_b64 s26, s[76:77]
	v_mov_b32_e32 v2, s26
	ds_add_u64 v0, v[2:3]
	s_trap 2
.LBB2_326:                              ;   in Loop: Header=BB2_305 Depth=2
	s_or_b64 exec, exec, s[74:75]
	s_trap 2
	ds_read_b64 v[17:18], v0
	s_waitcnt lgkmcnt(0)
	buffer_load_dword v2, off, s[0:3], s32 offset:132 ; 4-byte Folded Reload
	s_waitcnt vmcnt(0)
	v_add_co_u32_e32 v40, vcc, v40, v2
	v_addc_co_u32_e32 v41, vcc, 0, v41, vcc
	v_cmp_lt_u64_e32 vcc, v[17:18], v[40:41]
	s_and_saveexec_b64 s[74:75], vcc
	s_cbranch_execz .LBB2_335
; %bb.327:                              ;   in Loop: Header=BB2_305 Depth=2
	s_mov_b32 s26, 0
	s_mov_b64 s[76:77], 0
                                        ; implicit-def: $sgpr78_sgpr79
                                        ; implicit-def: $sgpr88_sgpr89
	s_branch .LBB2_329
.LBB2_328:                              ;   in Loop: Header=BB2_329 Depth=3
	s_or_b64 exec, exec, s[92:93]
	s_and_b64 s[90:91], exec, s[94:95]
	s_or_b64 s[76:77], s[90:91], s[76:77]
	s_andn2_b64 s[78:79], s[78:79], exec
	s_and_b64 s[90:91], s[88:89], exec
	s_or_b64 s[78:79], s[78:79], s[90:91]
	s_andn2_b64 exec, exec, s[76:77]
	s_cbranch_execz .LBB2_333
.LBB2_329:                              ;   Parent Loop BB2_32 Depth=1
                                        ;     Parent Loop BB2_305 Depth=2
                                        ; =>    This Inner Loop Header: Depth=3
	s_add_i32 s26, s26, 1
	s_cmpk_lg_i32 s26, 0x2710
	s_cselect_b64 s[90:91], -1, 0
	s_and_b64 vcc, exec, s[90:91]
	s_cbranch_vccz .LBB2_331
; %bb.330:                              ;   in Loop: Header=BB2_329 Depth=3
	s_mov_b64 s[94:95], -1
	s_or_b64 s[88:89], s[88:89], exec
	s_and_saveexec_b64 s[92:93], s[90:91]
	s_cbranch_execz .LBB2_328
	s_branch .LBB2_332
.LBB2_331:                              ;   in Loop: Header=BB2_329 Depth=3
	s_trap 2
	ds_read_b64 v[17:18], v0
	s_andn2_b64 s[90:91], s[90:91], exec
	s_mov_b32 s26, 0
	s_waitcnt lgkmcnt(0)
	flat_load_dword v2, v[17:18] glc
	s_waitcnt vmcnt(0) lgkmcnt(0)
	buffer_wbinvl1_vol
	v_cmp_eq_u32_e32 vcc, 0, v2
	s_and_b64 s[92:93], vcc, exec
	s_or_b64 s[90:91], s[90:91], s[92:93]
	s_mov_b64 s[94:95], -1
	s_or_b64 s[88:89], s[88:89], exec
	s_and_saveexec_b64 s[92:93], s[90:91]
	s_cbranch_execz .LBB2_328
.LBB2_332:                              ;   in Loop: Header=BB2_329 Depth=3
	s_sleep 1
	s_trap 2
	ds_read_b64 v[17:18], v0
	s_waitcnt lgkmcnt(0)
	s_andn2_b64 s[88:89], s[88:89], exec
	v_cmp_ge_u64_e32 vcc, v[17:18], v[40:41]
	s_orn2_b64 s[94:95], vcc, exec
	s_branch .LBB2_328
.LBB2_333:                              ;   in Loop: Header=BB2_305 Depth=2
	s_or_b64 exec, exec, s[76:77]
	s_and_saveexec_b64 s[76:77], s[78:79]
	s_xor_b64 s[76:77], exec, s[76:77]
	s_cbranch_execz .LBB2_335
; %bb.334:                              ;   in Loop: Header=BB2_305 Depth=2
	v_mov_b32_e32 v2, 1
	ds_write_b32 v0, v2
	s_trap 2
.LBB2_335:                              ;   in Loop: Header=BB2_305 Depth=2
	s_or_b64 exec, exec, s[74:75]
	;;#ASMSTART
	s_wakeup
	;;#ASMEND
.LBB2_336:                              ;   in Loop: Header=BB2_305 Depth=2
	s_or_b64 exec, exec, s[72:73]
.LBB2_337:                              ;   in Loop: Header=BB2_305 Depth=2
	s_andn2_saveexec_b64 s[62:63], s[62:63]
	s_cbranch_execz .LBB2_339
; %bb.338:                              ;   in Loop: Header=BB2_305 Depth=2
	s_waitcnt vmcnt(0) lgkmcnt(0)
	buffer_wbinvl1_vol
	s_barrier
.LBB2_339:                              ;   in Loop: Header=BB2_305 Depth=2
	s_or_b64 exec, exec, s[62:63]
.LBB2_340:                              ;   in Loop: Header=BB2_305 Depth=2
	s_or_b64 exec, exec, s[18:19]
	buffer_load_dword v58, off, s[0:3], s32 offset:60 ; 4-byte Folded Reload
	buffer_load_dword v59, off, s[0:3], s32 offset:64 ; 4-byte Folded Reload
	v_add_u32_e32 v18, 1, v46
	s_and_saveexec_b64 s[62:63], s[16:17]
	s_cbranch_execnz .LBB2_347
; %bb.341:                              ;   in Loop: Header=BB2_305 Depth=2
	s_or_b64 exec, exec, s[62:63]
	s_and_saveexec_b64 s[18:19], s[10:11]
	s_cbranch_execnz .LBB2_878
.LBB2_342:                              ;   in Loop: Header=BB2_305 Depth=2
	s_or_b64 exec, exec, s[18:19]
	s_and_saveexec_b64 s[18:19], s[14:15]
	s_cbranch_execz .LBB2_344
.LBB2_343:                              ;   in Loop: Header=BB2_305 Depth=2
	buffer_load_dword v19, off, s[0:3], s32 offset:96 ; 4-byte Folded Reload
	buffer_load_dword v20, off, s[0:3], s32 offset:100 ; 4-byte Folded Reload
	s_waitcnt vmcnt(0)
	v_add_co_u32_e32 v43, vcc, 1, v43
	v_addc_co_u32_e32 v44, vcc, 0, v44, vcc
	flat_store_dwordx2 v[19:20], v[43:44]
.LBB2_344:                              ;   in Loop: Header=BB2_305 Depth=2
	s_or_b64 exec, exec, s[18:19]
	v_and_b32_e32 v2, 0x7ffffff8, v46
	v_cmp_eq_u64_e32 vcc, s[44:45], v[2:3]
	s_waitcnt vmcnt(0)
	v_cmp_gt_i32_e64 s[18:19], s36, v58
	s_and_b64 s[18:19], vcc, s[18:19]
	s_and_saveexec_b64 s[62:63], s[18:19]
	s_cbranch_execz .LBB2_304
; %bb.345:                              ;   in Loop: Header=BB2_305 Depth=2
	s_waitcnt lgkmcnt(0)
	v_and_b32_e32 v0, 7, v26
	v_mul_lo_u32 v19, s36, v0
	v_ashrrev_i32_e32 v59, 31, v58
	v_lshlrev_b64 v[21:22], 4, v[58:59]
	v_mov_b32_e32 v17, v3
	v_ashrrev_i32_e32 v20, 31, v19
	v_lshlrev_b64 v[19:20], 4, v[19:20]
	s_mov_b64 s[72:73], 0
	v_add_co_u32_e32 v0, vcc, v21, v19
	v_addc_co_u32_e32 v2, vcc, v22, v20, vcc
	buffer_load_dword v19, off, s[0:3], s32 offset:76 ; 4-byte Folded Reload
	buffer_load_dword v20, off, s[0:3], s32 offset:80 ; 4-byte Folded Reload
	s_waitcnt vmcnt(1)
	v_add_co_u32_e32 v21, vcc, v19, v0
	s_waitcnt vmcnt(0)
	v_addc_co_u32_e32 v22, vcc, v20, v2, vcc
.LBB2_346:                              ;   Parent Loop BB2_32 Depth=1
                                        ;     Parent Loop BB2_305 Depth=2
                                        ; =>    This Inner Loop Header: Depth=3
	v_mov_b32_e32 v19, v17
	v_mov_b32_e32 v20, v18
	v_add_u32_e32 v58, v58, v1
	global_store_dwordx4 v[21:22], v[17:20], off
	v_add_co_u32_e32 v21, vcc, v21, v5
	v_cmp_le_i32_e64 s[18:19], s36, v58
	s_or_b64 s[72:73], s[18:19], s[72:73]
	v_addc_co_u32_e32 v22, vcc, v22, v6, vcc
	s_andn2_b64 exec, exec, s[72:73]
	s_cbranch_execnz .LBB2_346
	s_branch .LBB2_304
.LBB2_347:                              ;   in Loop: Header=BB2_305 Depth=2
	buffer_store_dword v43, off, s[0:3], s32 offset:68 ; 4-byte Folded Spill
	s_nop 0
	buffer_store_dword v44, off, s[0:3], s32 offset:72 ; 4-byte Folded Spill
	buffer_load_dword v10, off, s[0:3], s32 offset:88 ; 4-byte Folded Reload
	buffer_load_dword v19, off, s[0:3], s32 offset:112 ; 4-byte Folded Reload
	buffer_load_dword v20, off, s[0:3], s32 offset:116 ; 4-byte Folded Reload
	buffer_load_dword v17, off, s[0:3], s32 offset:92 ; 4-byte Folded Reload
	buffer_load_dword v22, off, s[0:3], s32 offset:104 ; 4-byte Folded Reload
	buffer_load_dword v23, off, s[0:3], s32 offset:108 ; 4-byte Folded Reload
	s_waitcnt vmcnt(0) lgkmcnt(0)
	v_ashrrev_i32_e32 v2, 31, v0
	v_add_u32_e32 v44, 1, v34
	s_mov_b64 s[72:73], 0
	v_mul_lo_u32 v2, v10, v2
	v_mad_u64_u32 v[60:61], s[18:19], v10, v0, v[19:20]
	v_mul_lo_u32 v0, v17, v0
	v_and_b32_e32 v10, 7, v34
	v_mul_lo_u32 v19, v10, s36
	v_mov_b32_e32 v10, v4
	v_add3_u32 v61, v0, v61, v2
	v_and_b32_e32 v0, 7, v46
	v_mul_lo_u32 v21, v0, s36
	v_ashrrev_i32_e32 v20, 31, v19
	v_lshlrev_b64 v[19:20], 4, v[19:20]
	v_add_co_u32_e32 v32, vcc, v22, v19
	v_ashrrev_i32_e32 v22, 31, v21
	v_addc_co_u32_e32 v33, vcc, v23, v20, vcc
	v_lshlrev_b64 v[19:20], 4, v[21:22]
	buffer_load_dword v21, off, s[0:3], s32 offset:76 ; 4-byte Folded Reload
	buffer_load_dword v22, off, s[0:3], s32 offset:80 ; 4-byte Folded Reload
	;; [unrolled: 1-line block ×4, first 2 shown]
	s_waitcnt vmcnt(3)
	v_add_co_u32_e32 v45, vcc, v21, v19
	s_waitcnt vmcnt(2)
	v_addc_co_u32_e32 v31, vcc, v22, v20, vcc
	s_branch .LBB2_350
.LBB2_348:                              ;   in Loop: Header=BB2_350 Depth=3
	s_or_b64 exec, exec, s[74:75]
.LBB2_349:                              ;   in Loop: Header=BB2_350 Depth=3
	s_or_b64 exec, exec, s[18:19]
	v_add_co_u32_e32 v60, vcc, v60, v25
	v_addc_co_u32_e32 v61, vcc, 0, v61, vcc
	v_lshlrev_b32_e32 v0, 8, v56
	v_lshlrev_b32_e32 v2, 16, v42
	v_or3_b32 v0, v0, v17, v2
	v_lshlrev_b32_e32 v17, 8, v23
	v_lshlrev_b32_e32 v20, 16, v27
	v_add_co_u32_e32 v21, vcc, v45, v29
	v_or3_b32 v20, v17, v22, v20
	v_addc_co_u32_e32 v22, vcc, v31, v30, vcc
	v_sub_u32_e32 v10, v10, v25
	v_lshlrev_b32_e32 v2, 24, v24
	v_lshlrev_b32_e32 v19, 24, v19
	v_cmp_gt_i32_e32 vcc, 1, v10
	v_or3_b32 v17, v0, v2, 0
	v_or3_b32 v19, v20, v19, 0
	v_mov_b32_e32 v20, v18
	s_or_b64 s[72:73], vcc, s[72:73]
	v_add_u32_e32 v58, v58, v1
	global_store_dwordx4 v[21:22], v[17:20], off
	s_andn2_b64 exec, exec, s[72:73]
	s_cbranch_execz .LBB2_877
.LBB2_350:                              ;   Parent Loop BB2_32 Depth=1
                                        ;     Parent Loop BB2_305 Depth=2
                                        ; =>    This Loop Header: Depth=3
                                        ;         Child Loop BB2_358 Depth 4
	v_and_b32_e32 v19, -4, v60
	v_mov_b32_e32 v20, v61
	global_load_dword v0, v[19:20], off glc slc
	v_min_u32_e32 v2, 8, v10
	v_and_b32_e32 v17, 3, v60
	v_add_u32_e32 v2, v17, v2
	v_cmp_lt_u32_e32 vcc, 4, v2
	v_mov_b32_e32 v23, 0
	v_mov_b32_e32 v36, 0
	s_and_saveexec_b64 s[18:19], vcc
	s_cbranch_execz .LBB2_352
; %bb.351:                              ;   in Loop: Header=BB2_350 Depth=3
	global_load_dword v36, v[19:20], off offset:4 glc slc
.LBB2_352:                              ;   in Loop: Header=BB2_350 Depth=3
	s_or_b64 exec, exec, s[18:19]
	v_cmp_lt_u64_e32 vcc, 8, v[2:3]
	s_and_saveexec_b64 s[18:19], vcc
	s_cbranch_execz .LBB2_354
; %bb.353:                              ;   in Loop: Header=BB2_350 Depth=3
	global_load_dword v23, v[19:20], off offset:8 glc slc
.LBB2_354:                              ;   in Loop: Header=BB2_350 Depth=3
	s_or_b64 exec, exec, s[18:19]
	s_waitcnt vmcnt(1)
	v_mov_b32_e32 v59, v3
	v_lshlrev_b64 v[29:30], 4, v[58:59]
	v_add_co_u32_e32 v27, vcc, v32, v29
	v_addc_co_u32_e32 v28, vcc, v33, v30, vcc
	global_load_dwordx4 v[19:22], v[27:28], off glc slc
	v_cmp_eq_u32_e32 vcc, 0, v9
	v_mov_b32_e32 v9, 1
	s_and_saveexec_b64 s[74:75], vcc
	s_cbranch_execz .LBB2_366
; %bb.355:                              ;   in Loop: Header=BB2_350 Depth=3
	s_waitcnt vmcnt(0)
	v_cmp_ne_u32_e32 vcc, v44, v20
	v_cmp_ne_u32_e64 s[18:19], v44, v22
	s_or_b64 s[18:19], vcc, s[18:19]
	v_mov_b32_e32 v9, 0
	s_and_saveexec_b64 s[76:77], s[18:19]
	s_cbranch_execz .LBB2_365
; %bb.356:                              ;   in Loop: Header=BB2_350 Depth=3
	s_mov_b32 s26, 1
	s_mov_b64 s[88:89], 0
                                        ; implicit-def: $sgpr78_sgpr79
                                        ; implicit-def: $sgpr90_sgpr91
	s_branch .LBB2_358
.LBB2_357:                              ;   in Loop: Header=BB2_358 Depth=4
	s_or_b64 exec, exec, s[94:95]
	s_and_b64 s[18:19], exec, s[18:19]
	s_or_b64 s[88:89], s[18:19], s[88:89]
	s_andn2_b64 s[18:19], s[78:79], exec
	s_and_b64 s[78:79], s[90:91], exec
	s_or_b64 s[78:79], s[18:19], s[78:79]
	s_andn2_b64 exec, exec, s[88:89]
	s_cbranch_execz .LBB2_362
.LBB2_358:                              ;   Parent Loop BB2_32 Depth=1
                                        ;     Parent Loop BB2_305 Depth=2
                                        ;       Parent Loop BB2_350 Depth=3
                                        ; =>      This Inner Loop Header: Depth=4
	global_load_dwordx4 v[19:22], v[27:28], off glc slc
	s_add_i32 s26, s26, 1
	s_mov_b64 s[18:19], -1
	s_cmpk_lg_i32 s26, 0x2710
	s_mov_b64 s[92:93], -1
                                        ; implicit-def: $vgpr2
	s_cbranch_scc0 .LBB2_360
; %bb.359:                              ;   in Loop: Header=BB2_358 Depth=4
	s_or_b64 s[90:91], s[90:91], exec
	s_and_saveexec_b64 s[94:95], s[92:93]
	s_cbranch_execz .LBB2_357
	s_branch .LBB2_361
.LBB2_360:                              ;   in Loop: Header=BB2_358 Depth=4
	s_trap 2
	ds_read_b64 v[37:38], v0
	s_mov_b32 s26, 0
	s_waitcnt vmcnt(0) lgkmcnt(0)
	flat_load_dword v2, v[37:38] glc
	s_waitcnt vmcnt(0) lgkmcnt(0)
	buffer_wbinvl1_vol
	v_cmp_eq_u32_e32 vcc, 0, v2
	s_orn2_b64 s[92:93], vcc, exec
	s_or_b64 s[90:91], s[90:91], exec
	s_and_saveexec_b64 s[94:95], s[92:93]
	s_cbranch_execz .LBB2_357
.LBB2_361:                              ;   in Loop: Header=BB2_358 Depth=4
	s_waitcnt vmcnt(0)
	v_cmp_eq_u32_e32 vcc, v44, v20
	v_cmp_eq_u32_e64 s[18:19], v44, v22
	s_and_b64 s[18:19], vcc, s[18:19]
	s_andn2_b64 s[90:91], s[90:91], exec
	s_orn2_b64 s[18:19], s[18:19], exec
	s_branch .LBB2_357
.LBB2_362:                              ;   in Loop: Header=BB2_350 Depth=3
	s_or_b64 exec, exec, s[88:89]
	v_mov_b32_e32 v9, 0
	s_and_saveexec_b64 s[18:19], s[78:79]
	s_xor_b64 s[18:19], exec, s[18:19]
	s_cbranch_execz .LBB2_364
; %bb.363:                              ;   in Loop: Header=BB2_350 Depth=3
	v_mov_b32_e32 v9, 1
	ds_write_b32 v0, v2
	s_trap 2
.LBB2_364:                              ;   in Loop: Header=BB2_350 Depth=3
	s_or_b64 exec, exec, s[18:19]
.LBB2_365:                              ;   in Loop: Header=BB2_350 Depth=3
	s_or_b64 exec, exec, s[76:77]
.LBB2_366:                              ;   in Loop: Header=BB2_350 Depth=3
	s_or_b64 exec, exec, s[74:75]
	v_lshlrev_b32_e32 v57, 3, v60
	s_waitcnt vmcnt(1)
	v_alignbit_b32 v2, v36, v0, v57
	v_cmp_ne_u16_sdwa s[74:75], v2, v3 src0_sel:BYTE_0 src1_sel:DWORD
	v_mov_b32_e32 v0, 0
	s_and_saveexec_b64 s[18:19], s[74:75]
	s_cbranch_execz .LBB2_374
; %bb.367:                              ;   in Loop: Header=BB2_350 Depth=3
	v_cmp_ne_u16_sdwa s[76:77], sext(v2), s38 src0_sel:BYTE_0 src1_sel:DWORD
	v_bfrev_b32_e32 v0, 1
	s_and_saveexec_b64 s[74:75], s[76:77]
	s_cbranch_execz .LBB2_373
; %bb.368:                              ;   in Loop: Header=BB2_350 Depth=3
	v_and_b32_e32 v0, 0x7c, v2
	v_and_b32_e32 v17, 3, v2
	v_cmp_ne_u32_e32 vcc, s39, v0
                                        ; implicit-def: $vgpr0
	s_and_saveexec_b64 s[76:77], vcc
	s_xor_b64 s[76:77], exec, s[76:77]
	s_cbranch_execz .LBB2_370
; %bb.369:                              ;   in Loop: Header=BB2_350 Depth=3
	v_ffbh_u32_e32 v24, v17
	v_min_u32_e32 v24, 32, v24
	v_bfe_u32 v0, v2, 2, 5
	v_subrev_u32_e32 v27, 29, v24
	v_lshlrev_b64 v[27:28], v27, v[2:3]
	v_sub_u32_e32 v24, 30, v24
	v_cmp_eq_u32_e32 vcc, 0, v0
	v_cndmask_b32_e32 v0, v0, v24, vcc
	v_lshlrev_b32_e32 v24, 24, v2
	v_and_b32_e32 v27, 3, v27
	v_and_b32_e32 v24, 0x80000000, v24
	v_cndmask_b32_e32 v17, v17, v27, vcc
	v_lshl_add_u32 v0, v0, 23, v24
	v_lshl_or_b32 v0, v17, 21, v0
	v_add_u32_e32 v0, 0x38000000, v0
                                        ; implicit-def: $vgpr17
.LBB2_370:                              ;   in Loop: Header=BB2_350 Depth=3
	s_andn2_saveexec_b64 s[76:77], s[76:77]
; %bb.371:                              ;   in Loop: Header=BB2_350 Depth=3
	v_cmp_gt_i16_sdwa vcc, sext(v2), v7 src0_sel:BYTE_0 src1_sel:DWORD
	v_cndmask_b32_e32 v0, v8, v54, vcc
	v_cmp_eq_u32_e32 vcc, 0, v17
	v_cndmask_b32_e32 v0, v55, v0, vcc
; %bb.372:                              ;   in Loop: Header=BB2_350 Depth=3
	s_or_b64 exec, exec, s[76:77]
.LBB2_373:                              ;   in Loop: Header=BB2_350 Depth=3
	s_or_b64 exec, exec, s[74:75]
.LBB2_374:                              ;   in Loop: Header=BB2_350 Depth=3
	s_or_b64 exec, exec, s[18:19]
	v_mul_f32_e32 v24, v62, v0
	v_and_b32_e32 v37, 0x7f800000, v24
	v_mov_b32_e32 v38, v3
	v_cmp_ne_u64_e32 vcc, s[56:57], v[37:38]
	v_and_b32_e32 v27, 0x7fffff, v24
	v_mov_b32_e32 v28, v3
                                        ; implicit-def: $vgpr17
	s_and_saveexec_b64 s[18:19], vcc
	s_xor_b64 s[74:75], exec, s[18:19]
	s_cbranch_execz .LBB2_388
; %bb.375:                              ;   in Loop: Header=BB2_350 Depth=3
	v_and_b32_e32 v37, 0x7fffffff, v24
	v_mov_b32_e32 v38, v3
	v_cmp_gt_u64_e32 vcc, s[58:59], v[37:38]
	v_and_b32_sdwa v0, v24, s48 dst_sel:DWORD dst_unused:UNUSED_PAD src0_sel:BYTE_3 src1_sel:DWORD
                                        ; implicit-def: $vgpr17
	s_and_saveexec_b64 s[18:19], vcc
	s_xor_b64 s[76:77], exec, s[18:19]
	s_cbranch_execz .LBB2_385
; %bb.376:                              ;   in Loop: Header=BB2_350 Depth=3
	v_mov_b32_e32 v17, 0
	v_cmp_ne_u32_e32 vcc, 0, v24
	s_and_saveexec_b64 s[78:79], vcc
	s_cbranch_execz .LBB2_384
; %bb.377:                              ;   in Loop: Header=BB2_350 Depth=3
	v_bfe_u32 v17, v24, 23, 8
	v_cmp_gt_u32_e64 s[18:19], s49, v17
	v_sub_u32_e32 v24, 0x71, v17
	v_cmp_eq_u32_e32 vcc, 0, v17
	v_cndmask_b32_e64 v24, 0, v24, s[18:19]
	v_or_b32_e32 v37, 0x800000, v27
	v_cndmask_b32_e32 v24, v24, v12, vcc
	v_cndmask_b32_e32 v27, v37, v27, vcc
	v_add_u32_e32 v37, 21, v24
	v_lshlrev_b64 v[37:38], v37, -1
	v_add_u32_e32 v39, 20, v24
	v_bfi_b32 v37, v37, 0, v27
	v_lshlrev_b64 v[42:43], v39, 1
	v_lshrrev_b64 v[27:28], v24, v[27:28]
	v_bfi_b32 v38, v38, 0, 0
	v_cmp_eq_u64_e64 s[18:19], v[37:38], v[42:43]
	v_mov_b32_e32 v43, v28
	v_mov_b32_e32 v42, v27
	s_and_saveexec_b64 s[88:89], s[18:19]
; %bb.378:                              ;   in Loop: Header=BB2_350 Depth=3
	v_bfe_u32 v28, v27, 21, 1
	v_add_co_u32_e64 v28, s[18:19], v27, v28
	v_add_co_u32_e64 v42, s[18:19], -1, v28
; %bb.379:                              ;   in Loop: Header=BB2_350 Depth=3
	s_or_b64 exec, exec, s[88:89]
	v_add_u32_e32 v17, 0xffffff81, v17
	v_cndmask_b32_e32 v17, v17, v48, vcc
	v_lshrrev_b32_e32 v28, 23, v27
	v_add3_u32 v37, v24, v17, v28
	v_add_u32_e32 v24, 14, v37
	v_and_b32_e32 v17, 0x1fffff, v42
	v_add_u32_e32 v27, v17, v27
	v_mov_b32_e32 v28, v3
	v_cmp_ne_u32_e32 vcc, 0, v24
                                        ; implicit-def: $vgpr17
	s_and_saveexec_b64 s[18:19], vcc
	s_xor_b64 s[18:19], exec, s[18:19]
; %bb.380:                              ;   in Loop: Header=BB2_350 Depth=3
	v_cmp_lt_u64_e32 vcc, s[60:61], v[27:28]
	v_add_u32_e32 v17, 15, v37
	v_cndmask_b32_e32 v17, v24, v17, vcc
	v_cndmask_b32_e64 v24, 0, 1, vcc
	v_lshrrev_b64 v[27:28], v24, v[27:28]
; %bb.381:                              ;   in Loop: Header=BB2_350 Depth=3
	s_andn2_saveexec_b64 s[18:19], s[18:19]
; %bb.382:                              ;   in Loop: Header=BB2_350 Depth=3
	v_bfe_u32 v17, v27, 23, 1
; %bb.383:                              ;   in Loop: Header=BB2_350 Depth=3
	s_or_b64 exec, exec, s[18:19]
	v_lshrrev_b64 v[27:28], 21, v[27:28]
	v_cmp_gt_i32_e32 vcc, 32, v17
	v_cndmask_b32_e32 v28, 0, v28, vcc
	v_cndmask_b32_e32 v27, 3, v27, vcc
	v_cmp_eq_u32_e32 vcc, 0, v17
	v_min_i32_e32 v17, 31, v17
	v_cmp_eq_u64_e64 s[18:19], 0, v[27:28]
	v_lshlrev_b32_e32 v17, 2, v17
	v_and_b32_e32 v17, 0xfc, v17
	v_and_or_b32 v17, v27, 3, v17
	s_and_b64 s[18:19], vcc, s[18:19]
	v_cndmask_b32_e64 v17, v17, 0, s[18:19]
	v_or_b32_e32 v17, v17, v0
.LBB2_384:                              ;   in Loop: Header=BB2_350 Depth=3
	s_or_b64 exec, exec, s[78:79]
                                        ; implicit-def: $vgpr0
.LBB2_385:                              ;   in Loop: Header=BB2_350 Depth=3
	s_andn2_saveexec_b64 s[18:19], s[76:77]
; %bb.386:                              ;   in Loop: Header=BB2_350 Depth=3
	v_or_b32_e32 v17, 0x7b, v0
; %bb.387:                              ;   in Loop: Header=BB2_350 Depth=3
	s_or_b64 exec, exec, s[18:19]
                                        ; implicit-def: $vgpr24
                                        ; implicit-def: $vgpr27_vgpr28
.LBB2_388:                              ;   in Loop: Header=BB2_350 Depth=3
	s_andn2_saveexec_b64 s[18:19], s[74:75]
	s_cbranch_execz .LBB2_394
; %bb.389:                              ;   in Loop: Header=BB2_350 Depth=3
	v_cmp_ne_u64_e32 vcc, 0, v[27:28]
                                        ; implicit-def: $vgpr17
	s_and_saveexec_b64 s[74:75], vcc
	s_xor_b64 s[74:75], exec, s[74:75]
; %bb.390:                              ;   in Loop: Header=BB2_350 Depth=3
	v_or_b32_sdwa v17, v24, s50 dst_sel:DWORD dst_unused:UNUSED_PAD src0_sel:BYTE_3 src1_sel:DWORD
                                        ; implicit-def: $vgpr24
; %bb.391:                              ;   in Loop: Header=BB2_350 Depth=3
	s_andn2_saveexec_b64 s[74:75], s[74:75]
; %bb.392:                              ;   in Loop: Header=BB2_350 Depth=3
	v_cmp_lt_i32_e32 vcc, -1, v24
	v_cndmask_b32_e32 v17, v49, v11, vcc
; %bb.393:                              ;   in Loop: Header=BB2_350 Depth=3
	s_or_b64 exec, exec, s[74:75]
.LBB2_394:                              ;   in Loop: Header=BB2_350 Depth=3
	s_or_b64 exec, exec, s[18:19]
	v_lshrrev_b16_e32 v27, 8, v2
	v_cmp_ne_u16_e32 vcc, 0, v27
	v_mov_b32_e32 v0, 0
	s_and_saveexec_b64 s[18:19], vcc
	s_cbranch_execz .LBB2_402
; %bb.395:                              ;   in Loop: Header=BB2_350 Depth=3
	v_cmp_ne_u16_e32 vcc, s48, v27
	v_bfrev_b32_e32 v0, 1
	s_and_saveexec_b64 s[74:75], vcc
	s_cbranch_execz .LBB2_401
; %bb.396:                              ;   in Loop: Header=BB2_350 Depth=3
	v_and_b32_e32 v0, 0x7c, v27
	v_and_b32_e32 v24, 3, v27
	v_cmp_ne_u32_e32 vcc, s39, v0
                                        ; implicit-def: $vgpr0
	s_and_saveexec_b64 s[76:77], vcc
	s_xor_b64 s[76:77], exec, s[76:77]
	s_cbranch_execz .LBB2_398
; %bb.397:                              ;   in Loop: Header=BB2_350 Depth=3
	v_ffbh_u32_e32 v37, v24
	v_min_u32_e32 v37, 32, v37
	v_mov_b32_e32 v28, v3
	v_subrev_u32_e32 v38, 29, v37
	v_bfe_u32 v0, v27, 2, 5
	v_lshlrev_b64 v[27:28], v38, v[27:28]
	v_cmp_eq_u32_e32 vcc, 0, v0
	v_and_b32_e32 v27, 3, v27
	v_sub_u32_e32 v28, 30, v37
	v_cndmask_b32_e32 v24, v24, v27, vcc
	v_lshlrev_b32_e32 v27, 16, v2
	v_cndmask_b32_e32 v0, v0, v28, vcc
	v_and_b32_e32 v27, 0x80000000, v27
	v_lshl_add_u32 v0, v0, 23, v27
	v_lshl_or_b32 v0, v24, 21, v0
	v_add_u32_e32 v0, 0x38000000, v0
                                        ; implicit-def: $vgpr24
.LBB2_398:                              ;   in Loop: Header=BB2_350 Depth=3
	s_andn2_saveexec_b64 s[76:77], s[76:77]
; %bb.399:                              ;   in Loop: Header=BB2_350 Depth=3
	v_cmp_lt_i16_e32 vcc, -1, v2
	v_cndmask_b32_e32 v0, v8, v54, vcc
	v_cmp_eq_u32_e32 vcc, 0, v24
	v_cndmask_b32_e32 v0, v55, v0, vcc
; %bb.400:                              ;   in Loop: Header=BB2_350 Depth=3
	s_or_b64 exec, exec, s[76:77]
.LBB2_401:                              ;   in Loop: Header=BB2_350 Depth=3
	s_or_b64 exec, exec, s[74:75]
.LBB2_402:                              ;   in Loop: Header=BB2_350 Depth=3
	s_or_b64 exec, exec, s[18:19]
	v_mul_f32_e32 v37, v62, v0
	v_and_b32_e32 v38, 0x7f800000, v37
	v_mov_b32_e32 v39, v3
	v_cmp_ne_u64_e32 vcc, s[56:57], v[38:39]
	v_and_b32_e32 v27, 0x7fffff, v37
	v_mov_b32_e32 v28, v3
                                        ; implicit-def: $vgpr24
	s_and_saveexec_b64 s[18:19], vcc
	s_xor_b64 s[74:75], exec, s[18:19]
	s_cbranch_execz .LBB2_416
; %bb.403:                              ;   in Loop: Header=BB2_350 Depth=3
	v_and_b32_e32 v38, 0x7fffffff, v37
	v_mov_b32_e32 v39, v3
	v_cmp_gt_u64_e32 vcc, s[58:59], v[38:39]
	v_and_b32_sdwa v0, v37, s48 dst_sel:DWORD dst_unused:UNUSED_PAD src0_sel:BYTE_3 src1_sel:DWORD
                                        ; implicit-def: $vgpr24
	s_and_saveexec_b64 s[18:19], vcc
	s_xor_b64 s[76:77], exec, s[18:19]
	s_cbranch_execz .LBB2_413
; %bb.404:                              ;   in Loop: Header=BB2_350 Depth=3
	v_mov_b32_e32 v24, 0
	v_cmp_ne_u32_e32 vcc, 0, v37
	s_and_saveexec_b64 s[78:79], vcc
	s_cbranch_execz .LBB2_412
; %bb.405:                              ;   in Loop: Header=BB2_350 Depth=3
	v_bfe_u32 v24, v37, 23, 8
	v_cmp_gt_u32_e64 s[18:19], s49, v24
	v_sub_u32_e32 v37, 0x71, v24
	v_cmp_eq_u32_e32 vcc, 0, v24
	v_cndmask_b32_e64 v37, 0, v37, s[18:19]
	v_or_b32_e32 v38, 0x800000, v27
	v_cndmask_b32_e32 v37, v37, v12, vcc
	v_cndmask_b32_e32 v27, v38, v27, vcc
	v_add_u32_e32 v38, 21, v37
	v_lshlrev_b64 v[38:39], v38, -1
	v_add_u32_e32 v42, 20, v37
	v_bfi_b32 v38, v38, 0, v27
	v_lshlrev_b64 v[42:43], v42, 1
	v_lshrrev_b64 v[27:28], v37, v[27:28]
	v_bfi_b32 v39, v39, 0, 0
	v_cmp_eq_u64_e64 s[18:19], v[38:39], v[42:43]
	v_mov_b32_e32 v43, v28
	v_mov_b32_e32 v42, v27
	s_and_saveexec_b64 s[88:89], s[18:19]
; %bb.406:                              ;   in Loop: Header=BB2_350 Depth=3
	v_bfe_u32 v28, v27, 21, 1
	v_add_co_u32_e64 v28, s[18:19], v27, v28
	v_add_co_u32_e64 v42, s[18:19], -1, v28
; %bb.407:                              ;   in Loop: Header=BB2_350 Depth=3
	s_or_b64 exec, exec, s[88:89]
	v_add_u32_e32 v24, 0xffffff81, v24
	v_cndmask_b32_e32 v24, v24, v48, vcc
	v_lshrrev_b32_e32 v28, 23, v27
	v_add3_u32 v38, v37, v24, v28
	v_add_u32_e32 v37, 14, v38
	v_and_b32_e32 v24, 0x1fffff, v42
	v_add_u32_e32 v27, v24, v27
	v_mov_b32_e32 v28, v3
	v_cmp_ne_u32_e32 vcc, 0, v37
                                        ; implicit-def: $vgpr24
	s_and_saveexec_b64 s[18:19], vcc
	s_xor_b64 s[18:19], exec, s[18:19]
; %bb.408:                              ;   in Loop: Header=BB2_350 Depth=3
	v_cmp_lt_u64_e32 vcc, s[60:61], v[27:28]
	v_add_u32_e32 v24, 15, v38
	v_cndmask_b32_e32 v24, v37, v24, vcc
	v_cndmask_b32_e64 v37, 0, 1, vcc
	v_lshrrev_b64 v[27:28], v37, v[27:28]
; %bb.409:                              ;   in Loop: Header=BB2_350 Depth=3
	s_andn2_saveexec_b64 s[18:19], s[18:19]
; %bb.410:                              ;   in Loop: Header=BB2_350 Depth=3
	v_bfe_u32 v24, v27, 23, 1
; %bb.411:                              ;   in Loop: Header=BB2_350 Depth=3
	s_or_b64 exec, exec, s[18:19]
	v_lshrrev_b64 v[27:28], 21, v[27:28]
	v_cmp_gt_i32_e32 vcc, 32, v24
	v_cndmask_b32_e32 v28, 0, v28, vcc
	v_cndmask_b32_e32 v27, 3, v27, vcc
	v_cmp_eq_u32_e32 vcc, 0, v24
	v_min_i32_e32 v24, 31, v24
	v_cmp_eq_u64_e64 s[18:19], 0, v[27:28]
	v_lshlrev_b32_e32 v24, 2, v24
	v_and_b32_e32 v24, 0xfc, v24
	v_and_or_b32 v24, v27, 3, v24
	s_and_b64 s[18:19], vcc, s[18:19]
	v_cndmask_b32_e64 v24, v24, 0, s[18:19]
	v_or_b32_e32 v24, v24, v0
.LBB2_412:                              ;   in Loop: Header=BB2_350 Depth=3
	s_or_b64 exec, exec, s[78:79]
                                        ; implicit-def: $vgpr0
.LBB2_413:                              ;   in Loop: Header=BB2_350 Depth=3
	s_andn2_saveexec_b64 s[18:19], s[76:77]
; %bb.414:                              ;   in Loop: Header=BB2_350 Depth=3
	v_or_b32_e32 v24, 0x7b, v0
; %bb.415:                              ;   in Loop: Header=BB2_350 Depth=3
	s_or_b64 exec, exec, s[18:19]
                                        ; implicit-def: $vgpr37
                                        ; implicit-def: $vgpr27_vgpr28
.LBB2_416:                              ;   in Loop: Header=BB2_350 Depth=3
	s_andn2_saveexec_b64 s[18:19], s[74:75]
	s_cbranch_execz .LBB2_422
; %bb.417:                              ;   in Loop: Header=BB2_350 Depth=3
	v_cmp_ne_u64_e32 vcc, 0, v[27:28]
                                        ; implicit-def: $vgpr24
	s_and_saveexec_b64 s[74:75], vcc
	s_xor_b64 s[74:75], exec, s[74:75]
; %bb.418:                              ;   in Loop: Header=BB2_350 Depth=3
	v_or_b32_sdwa v24, v37, s50 dst_sel:DWORD dst_unused:UNUSED_PAD src0_sel:BYTE_3 src1_sel:DWORD
                                        ; implicit-def: $vgpr37
; %bb.419:                              ;   in Loop: Header=BB2_350 Depth=3
	s_andn2_saveexec_b64 s[74:75], s[74:75]
; %bb.420:                              ;   in Loop: Header=BB2_350 Depth=3
	v_cmp_lt_i32_e32 vcc, -1, v37
	v_cndmask_b32_e32 v24, v49, v11, vcc
; %bb.421:                              ;   in Loop: Header=BB2_350 Depth=3
	s_or_b64 exec, exec, s[74:75]
.LBB2_422:                              ;   in Loop: Header=BB2_350 Depth=3
	s_or_b64 exec, exec, s[18:19]
	v_and_b32_sdwa v28, v2, s37 dst_sel:DWORD dst_unused:UNUSED_PAD src0_sel:WORD_1 src1_sel:DWORD
	v_lshrrev_b32_e32 v27, 16, v2
	v_cmp_ne_u16_e32 vcc, 0, v28
	v_mov_b32_e32 v0, 0
	s_and_saveexec_b64 s[18:19], vcc
	s_cbranch_execz .LBB2_430
; %bb.423:                              ;   in Loop: Header=BB2_350 Depth=3
	v_cmp_ne_u16_e32 vcc, s48, v28
	v_bfrev_b32_e32 v0, 1
	s_and_saveexec_b64 s[74:75], vcc
	s_cbranch_execz .LBB2_429
; %bb.424:                              ;   in Loop: Header=BB2_350 Depth=3
	v_and_b32_e32 v0, 0x7c0000, v2
	v_bfe_u32 v28, v2, 16, 2
	v_cmp_ne_u32_e32 vcc, s51, v0
                                        ; implicit-def: $vgpr0
	s_and_saveexec_b64 s[76:77], vcc
	s_xor_b64 s[76:77], exec, s[76:77]
	s_cbranch_execz .LBB2_426
; %bb.425:                              ;   in Loop: Header=BB2_350 Depth=3
	v_ffbh_u32_e32 v37, v28
	v_min_u32_e32 v39, 32, v37
	v_lshrrev_b32_e32 v0, 16, v2
	v_subrev_u32_e32 v37, 29, v39
	v_lshlrev_b64 v[37:38], v37, v[0:1]
	v_bfe_u32 v27, v2, 18, 5
	v_sub_u32_e32 v0, 30, v39
	v_and_b32_e32 v37, 3, v37
	v_cmp_eq_u32_e32 vcc, 0, v27
	v_cndmask_b32_e32 v0, v27, v0, vcc
	v_cndmask_b32_e32 v27, v28, v37, vcc
	v_lshlrev_b32_e32 v28, 8, v2
	v_and_b32_e32 v28, 0x80000000, v28
	v_lshl_add_u32 v0, v0, 23, v28
	v_lshl_or_b32 v0, v27, 21, v0
	v_add_u32_e32 v0, 0x38000000, v0
                                        ; implicit-def: $vgpr28
                                        ; implicit-def: $vgpr27
.LBB2_426:                              ;   in Loop: Header=BB2_350 Depth=3
	s_andn2_saveexec_b64 s[76:77], s[76:77]
; %bb.427:                              ;   in Loop: Header=BB2_350 Depth=3
	v_cmp_gt_i16_sdwa vcc, sext(v27), v7 src0_sel:BYTE_0 src1_sel:DWORD
	v_cndmask_b32_e32 v0, v8, v54, vcc
	v_cmp_eq_u32_e32 vcc, 0, v28
	v_cndmask_b32_e32 v0, v55, v0, vcc
; %bb.428:                              ;   in Loop: Header=BB2_350 Depth=3
	s_or_b64 exec, exec, s[76:77]
.LBB2_429:                              ;   in Loop: Header=BB2_350 Depth=3
	s_or_b64 exec, exec, s[74:75]
.LBB2_430:                              ;   in Loop: Header=BB2_350 Depth=3
	s_or_b64 exec, exec, s[18:19]
	v_mul_f32_e32 v42, v62, v0
	v_and_b32_e32 v37, 0x7f800000, v42
	v_mov_b32_e32 v38, v3
	v_cmp_ne_u64_e32 vcc, s[56:57], v[37:38]
	v_and_b32_e32 v27, 0x7fffff, v42
	v_mov_b32_e32 v28, v3
                                        ; implicit-def: $vgpr37
	s_and_saveexec_b64 s[18:19], vcc
	s_xor_b64 s[74:75], exec, s[18:19]
	s_cbranch_execz .LBB2_444
; %bb.431:                              ;   in Loop: Header=BB2_350 Depth=3
	v_and_b32_e32 v37, 0x7fffffff, v42
	v_mov_b32_e32 v38, v3
	v_cmp_gt_u64_e32 vcc, s[58:59], v[37:38]
	v_and_b32_sdwa v0, v42, s48 dst_sel:DWORD dst_unused:UNUSED_PAD src0_sel:BYTE_3 src1_sel:DWORD
                                        ; implicit-def: $vgpr37
	s_and_saveexec_b64 s[18:19], vcc
	s_xor_b64 s[76:77], exec, s[18:19]
	s_cbranch_execz .LBB2_441
; %bb.432:                              ;   in Loop: Header=BB2_350 Depth=3
	v_mov_b32_e32 v37, 0
	v_cmp_ne_u32_e32 vcc, 0, v42
	s_and_saveexec_b64 s[78:79], vcc
	s_cbranch_execz .LBB2_440
; %bb.433:                              ;   in Loop: Header=BB2_350 Depth=3
	v_bfe_u32 v37, v42, 23, 8
	v_cmp_gt_u32_e64 s[18:19], s49, v37
	v_sub_u32_e32 v38, 0x71, v37
	v_cmp_eq_u32_e32 vcc, 0, v37
	v_cndmask_b32_e64 v38, 0, v38, s[18:19]
	v_cndmask_b32_e32 v56, v38, v12, vcc
	v_or_b32_e32 v39, 0x800000, v27
	v_add_u32_e32 v38, 21, v56
	v_cndmask_b32_e32 v27, v39, v27, vcc
	v_lshlrev_b64 v[38:39], v38, -1
	v_add_u32_e32 v42, 20, v56
	v_bfi_b32 v38, v38, 0, v27
	v_lshlrev_b64 v[42:43], v42, 1
	v_lshrrev_b64 v[27:28], v56, v[27:28]
	v_bfi_b32 v39, v39, 0, 0
	v_cmp_eq_u64_e64 s[18:19], v[38:39], v[42:43]
	v_mov_b32_e32 v43, v28
	v_mov_b32_e32 v42, v27
	s_and_saveexec_b64 s[88:89], s[18:19]
; %bb.434:                              ;   in Loop: Header=BB2_350 Depth=3
	v_bfe_u32 v28, v27, 21, 1
	v_add_co_u32_e64 v28, s[18:19], v27, v28
	v_add_co_u32_e64 v42, s[18:19], -1, v28
; %bb.435:                              ;   in Loop: Header=BB2_350 Depth=3
	s_or_b64 exec, exec, s[88:89]
	v_add_u32_e32 v28, 0xffffff81, v37
	v_cndmask_b32_e32 v28, v28, v48, vcc
	v_lshrrev_b32_e32 v37, 23, v27
	v_add3_u32 v39, v56, v28, v37
	v_add_u32_e32 v38, 14, v39
	v_and_b32_e32 v28, 0x1fffff, v42
	v_add_u32_e32 v27, v28, v27
	v_mov_b32_e32 v28, v3
	v_cmp_ne_u32_e32 vcc, 0, v38
                                        ; implicit-def: $vgpr37
	s_and_saveexec_b64 s[18:19], vcc
	s_xor_b64 s[18:19], exec, s[18:19]
; %bb.436:                              ;   in Loop: Header=BB2_350 Depth=3
	v_cmp_lt_u64_e32 vcc, s[60:61], v[27:28]
	v_add_u32_e32 v37, 15, v39
	v_cndmask_b32_e32 v37, v38, v37, vcc
	v_cndmask_b32_e64 v38, 0, 1, vcc
	v_lshrrev_b64 v[27:28], v38, v[27:28]
; %bb.437:                              ;   in Loop: Header=BB2_350 Depth=3
	s_andn2_saveexec_b64 s[18:19], s[18:19]
; %bb.438:                              ;   in Loop: Header=BB2_350 Depth=3
	v_bfe_u32 v37, v27, 23, 1
; %bb.439:                              ;   in Loop: Header=BB2_350 Depth=3
	s_or_b64 exec, exec, s[18:19]
	v_lshrrev_b64 v[27:28], 21, v[27:28]
	v_cmp_gt_i32_e32 vcc, 32, v37
	v_cndmask_b32_e32 v28, 0, v28, vcc
	v_cndmask_b32_e32 v27, 3, v27, vcc
	v_cmp_eq_u64_e64 s[18:19], 0, v[27:28]
	v_min_i32_e32 v28, 31, v37
	v_lshlrev_b32_e32 v28, 2, v28
	v_cmp_eq_u32_e32 vcc, 0, v37
	v_and_b32_e32 v28, 0xfc, v28
	v_and_or_b32 v27, v27, 3, v28
	s_and_b64 s[18:19], vcc, s[18:19]
	v_cndmask_b32_e64 v27, v27, 0, s[18:19]
	v_or_b32_e32 v37, v27, v0
.LBB2_440:                              ;   in Loop: Header=BB2_350 Depth=3
	s_or_b64 exec, exec, s[78:79]
                                        ; implicit-def: $vgpr0
.LBB2_441:                              ;   in Loop: Header=BB2_350 Depth=3
	s_andn2_saveexec_b64 s[18:19], s[76:77]
; %bb.442:                              ;   in Loop: Header=BB2_350 Depth=3
	v_or_b32_e32 v37, 0x7b, v0
; %bb.443:                              ;   in Loop: Header=BB2_350 Depth=3
	s_or_b64 exec, exec, s[18:19]
                                        ; implicit-def: $vgpr42
                                        ; implicit-def: $vgpr27_vgpr28
.LBB2_444:                              ;   in Loop: Header=BB2_350 Depth=3
	s_andn2_saveexec_b64 s[18:19], s[74:75]
	s_cbranch_execz .LBB2_450
; %bb.445:                              ;   in Loop: Header=BB2_350 Depth=3
	v_cmp_ne_u64_e32 vcc, 0, v[27:28]
                                        ; implicit-def: $vgpr37
	s_and_saveexec_b64 s[74:75], vcc
	s_xor_b64 s[74:75], exec, s[74:75]
; %bb.446:                              ;   in Loop: Header=BB2_350 Depth=3
	v_or_b32_sdwa v37, v42, s50 dst_sel:DWORD dst_unused:UNUSED_PAD src0_sel:BYTE_3 src1_sel:DWORD
                                        ; implicit-def: $vgpr42
; %bb.447:                              ;   in Loop: Header=BB2_350 Depth=3
	s_andn2_saveexec_b64 s[74:75], s[74:75]
; %bb.448:                              ;   in Loop: Header=BB2_350 Depth=3
	v_cmp_lt_i32_e32 vcc, -1, v42
	v_cndmask_b32_e32 v37, v49, v11, vcc
; %bb.449:                              ;   in Loop: Header=BB2_350 Depth=3
	s_or_b64 exec, exec, s[74:75]
.LBB2_450:                              ;   in Loop: Header=BB2_350 Depth=3
	s_or_b64 exec, exec, s[18:19]
	v_cmp_lt_u32_e32 vcc, s47, v2
	v_mov_b32_e32 v27, 0
	s_and_saveexec_b64 s[18:19], vcc
	s_cbranch_execz .LBB2_458
; %bb.451:                              ;   in Loop: Header=BB2_350 Depth=3
	v_lshrrev_b32_e32 v0, 24, v2
	v_cmp_ne_u32_e32 vcc, s48, v0
	v_bfrev_b32_e32 v27, 1
	s_and_saveexec_b64 s[74:75], vcc
	s_cbranch_execz .LBB2_457
; %bb.452:                              ;   in Loop: Header=BB2_350 Depth=3
	v_and_b32_e32 v27, 0x7c000000, v2
	v_bfe_u32 v28, v2, 24, 2
	v_cmp_ne_u32_e32 vcc, s52, v27
                                        ; implicit-def: $vgpr27
	s_and_saveexec_b64 s[76:77], vcc
	s_xor_b64 s[76:77], exec, s[76:77]
	s_cbranch_execz .LBB2_454
; %bb.453:                              ;   in Loop: Header=BB2_350 Depth=3
	v_ffbh_u32_e32 v38, v28
	v_min_u32_e32 v42, 32, v38
	v_subrev_u32_e32 v38, 29, v42
	v_bfe_u32 v27, v2, 26, 5
	v_lshlrev_b64 v[38:39], v38, v[0:1]
	v_sub_u32_e32 v0, 30, v42
	v_cmp_eq_u32_e32 vcc, 0, v27
	v_and_b32_e32 v38, 3, v38
	v_cndmask_b32_e32 v0, v27, v0, vcc
	v_and_b32_e32 v2, 0x80000000, v2
	v_cndmask_b32_e32 v27, v28, v38, vcc
	v_lshl_add_u32 v0, v0, 23, v2
	v_lshl_or_b32 v0, v27, 21, v0
	v_add_u32_e32 v27, 0x38000000, v0
                                        ; implicit-def: $vgpr28
.LBB2_454:                              ;   in Loop: Header=BB2_350 Depth=3
	s_andn2_saveexec_b64 s[76:77], s[76:77]
; %bb.455:                              ;   in Loop: Header=BB2_350 Depth=3
	v_cmp_lt_i32_e32 vcc, -1, v2
	v_cndmask_b32_e32 v0, v8, v54, vcc
	v_cmp_eq_u32_e32 vcc, 0, v28
	v_cndmask_b32_e32 v27, v55, v0, vcc
; %bb.456:                              ;   in Loop: Header=BB2_350 Depth=3
	s_or_b64 exec, exec, s[76:77]
.LBB2_457:                              ;   in Loop: Header=BB2_350 Depth=3
	s_or_b64 exec, exec, s[74:75]
.LBB2_458:                              ;   in Loop: Header=BB2_350 Depth=3
	s_or_b64 exec, exec, s[18:19]
	v_mul_f32_e32 v27, v62, v27
	v_and_b32_e32 v38, 0x7f800000, v27
	v_mov_b32_e32 v39, v3
	v_cmp_ne_u64_e32 vcc, s[56:57], v[38:39]
	v_and_b32_e32 v2, 0x7fffff, v27
                                        ; implicit-def: $vgpr56
	s_and_saveexec_b64 s[18:19], vcc
	s_xor_b64 s[74:75], exec, s[18:19]
	s_cbranch_execz .LBB2_472
; %bb.459:                              ;   in Loop: Header=BB2_350 Depth=3
	v_and_b32_e32 v38, 0x7fffffff, v27
	v_mov_b32_e32 v39, v3
	v_cmp_gt_u64_e32 vcc, s[58:59], v[38:39]
	v_and_b32_sdwa v0, v27, s48 dst_sel:DWORD dst_unused:UNUSED_PAD src0_sel:BYTE_3 src1_sel:DWORD
                                        ; implicit-def: $vgpr56
	s_and_saveexec_b64 s[18:19], vcc
	s_xor_b64 s[76:77], exec, s[18:19]
	s_cbranch_execz .LBB2_469
; %bb.460:                              ;   in Loop: Header=BB2_350 Depth=3
	v_mov_b32_e32 v56, 0
	v_cmp_ne_u32_e32 vcc, 0, v27
	s_and_saveexec_b64 s[78:79], vcc
	s_cbranch_execz .LBB2_468
; %bb.461:                              ;   in Loop: Header=BB2_350 Depth=3
	v_bfe_u32 v56, v27, 23, 8
	v_cmp_gt_u32_e64 s[18:19], s49, v56
	v_sub_u32_e32 v27, 0x71, v56
	v_cmp_eq_u32_e32 vcc, 0, v56
	v_cndmask_b32_e64 v27, 0, v27, s[18:19]
	v_cndmask_b32_e32 v59, v27, v12, vcc
	v_or_b32_e32 v28, 0x800000, v2
	v_add_u32_e32 v27, 21, v59
	v_cndmask_b32_e32 v2, v28, v2, vcc
	v_lshlrev_b64 v[27:28], v27, -1
	v_add_u32_e32 v38, 20, v59
	v_lshlrev_b64 v[38:39], v38, 1
	v_bfi_b32 v28, v28, 0, 0
	v_bfi_b32 v27, v27, 0, v2
	v_cmp_eq_u64_e64 s[18:19], v[27:28], v[38:39]
	v_lshrrev_b64 v[27:28], v59, v[2:3]
	v_mov_b32_e32 v43, v28
	v_mov_b32_e32 v42, v27
	s_and_saveexec_b64 s[88:89], s[18:19]
; %bb.462:                              ;   in Loop: Header=BB2_350 Depth=3
	v_bfe_u32 v2, v27, 21, 1
	v_add_co_u32_e64 v2, s[18:19], v27, v2
	v_add_co_u32_e64 v42, s[18:19], -1, v2
; %bb.463:                              ;   in Loop: Header=BB2_350 Depth=3
	s_or_b64 exec, exec, s[88:89]
	v_add_u32_e32 v2, 0xffffff81, v56
	v_cndmask_b32_e32 v2, v2, v48, vcc
	v_lshrrev_b32_e32 v28, 23, v27
	v_add3_u32 v39, v59, v2, v28
	v_add_u32_e32 v38, 14, v39
	v_and_b32_e32 v2, 0x1fffff, v42
	v_add_u32_e32 v2, v2, v27
	v_cmp_ne_u32_e32 vcc, 0, v38
                                        ; implicit-def: $vgpr27_vgpr28
                                        ; implicit-def: $vgpr42
	s_and_saveexec_b64 s[18:19], vcc
	s_xor_b64 s[18:19], exec, s[18:19]
; %bb.464:                              ;   in Loop: Header=BB2_350 Depth=3
	v_cmp_lt_u64_e32 vcc, s[60:61], v[2:3]
	v_add_u32_e32 v27, 15, v39
	v_cndmask_b32_e32 v42, v38, v27, vcc
	v_cndmask_b32_e64 v27, 0, 1, vcc
	v_lshrrev_b64 v[27:28], v27, v[2:3]
; %bb.465:                              ;   in Loop: Header=BB2_350 Depth=3
	s_andn2_saveexec_b64 s[18:19], s[18:19]
; %bb.466:                              ;   in Loop: Header=BB2_350 Depth=3
	v_mov_b32_e32 v28, v3
	v_bfe_u32 v42, v2, 23, 1
	v_mov_b32_e32 v27, v2
; %bb.467:                              ;   in Loop: Header=BB2_350 Depth=3
	s_or_b64 exec, exec, s[18:19]
	v_lshrrev_b64 v[27:28], 21, v[27:28]
	v_cmp_gt_i32_e32 vcc, 32, v42
	v_cndmask_b32_e32 v28, 0, v28, vcc
	v_cndmask_b32_e32 v27, 3, v27, vcc
	v_min_i32_e32 v2, 31, v42
	v_cmp_eq_u64_e64 s[18:19], 0, v[27:28]
	v_lshlrev_b32_e32 v2, 2, v2
	v_cmp_eq_u32_e32 vcc, 0, v42
	v_and_b32_e32 v2, 0xfc, v2
	v_and_or_b32 v2, v27, 3, v2
	s_and_b64 s[18:19], vcc, s[18:19]
	v_cndmask_b32_e64 v2, v2, 0, s[18:19]
	v_or_b32_e32 v56, v2, v0
.LBB2_468:                              ;   in Loop: Header=BB2_350 Depth=3
	s_or_b64 exec, exec, s[78:79]
                                        ; implicit-def: $vgpr0
.LBB2_469:                              ;   in Loop: Header=BB2_350 Depth=3
	s_andn2_saveexec_b64 s[18:19], s[76:77]
; %bb.470:                              ;   in Loop: Header=BB2_350 Depth=3
	v_or_b32_e32 v56, 0x7b, v0
; %bb.471:                              ;   in Loop: Header=BB2_350 Depth=3
	s_or_b64 exec, exec, s[18:19]
                                        ; implicit-def: $vgpr27
.LBB2_472:                              ;   in Loop: Header=BB2_350 Depth=3
	s_andn2_saveexec_b64 s[18:19], s[74:75]
	s_cbranch_execz .LBB2_478
; %bb.473:                              ;   in Loop: Header=BB2_350 Depth=3
	v_cmp_ne_u64_e32 vcc, 0, v[2:3]
                                        ; implicit-def: $vgpr56
	s_and_saveexec_b64 s[74:75], vcc
	s_xor_b64 s[74:75], exec, s[74:75]
; %bb.474:                              ;   in Loop: Header=BB2_350 Depth=3
	v_or_b32_sdwa v56, v27, s50 dst_sel:DWORD dst_unused:UNUSED_PAD src0_sel:BYTE_3 src1_sel:DWORD
                                        ; implicit-def: $vgpr27
; %bb.475:                              ;   in Loop: Header=BB2_350 Depth=3
	s_andn2_saveexec_b64 s[74:75], s[74:75]
; %bb.476:                              ;   in Loop: Header=BB2_350 Depth=3
	v_cmp_lt_i32_e32 vcc, -1, v27
	v_cndmask_b32_e32 v56, v49, v11, vcc
; %bb.477:                              ;   in Loop: Header=BB2_350 Depth=3
	s_or_b64 exec, exec, s[74:75]
.LBB2_478:                              ;   in Loop: Header=BB2_350 Depth=3
	s_or_b64 exec, exec, s[18:19]
	v_alignbit_b32 v2, v23, v36, v57
	v_cmp_ne_u16_sdwa s[74:75], v2, v3 src0_sel:BYTE_0 src1_sel:DWORD
	v_mov_b32_e32 v0, 0
	s_and_saveexec_b64 s[18:19], s[74:75]
	s_cbranch_execz .LBB2_486
; %bb.479:                              ;   in Loop: Header=BB2_350 Depth=3
	v_cmp_ne_u16_sdwa s[76:77], sext(v2), s38 src0_sel:BYTE_0 src1_sel:DWORD
	v_bfrev_b32_e32 v0, 1
	s_and_saveexec_b64 s[74:75], s[76:77]
	s_cbranch_execz .LBB2_485
; %bb.480:                              ;   in Loop: Header=BB2_350 Depth=3
	v_and_b32_e32 v0, 0x7c, v2
	v_and_b32_e32 v23, 3, v2
	v_cmp_ne_u32_e32 vcc, s39, v0
                                        ; implicit-def: $vgpr0
	s_and_saveexec_b64 s[76:77], vcc
	s_xor_b64 s[76:77], exec, s[76:77]
	s_cbranch_execz .LBB2_482
; %bb.481:                              ;   in Loop: Header=BB2_350 Depth=3
	v_ffbh_u32_e32 v27, v23
	v_min_u32_e32 v36, 32, v27
	v_subrev_u32_e32 v27, 29, v36
	v_lshlrev_b64 v[27:28], v27, v[2:3]
	v_bfe_u32 v0, v2, 2, 5
	v_and_b32_e32 v27, 3, v27
	v_cmp_eq_u32_e32 vcc, 0, v0
	v_sub_u32_e32 v28, 30, v36
	v_cndmask_b32_e32 v23, v23, v27, vcc
	v_lshlrev_b32_e32 v27, 24, v2
	v_cndmask_b32_e32 v0, v0, v28, vcc
	v_and_b32_e32 v27, 0x80000000, v27
	v_lshl_add_u32 v0, v0, 23, v27
	v_lshl_or_b32 v0, v23, 21, v0
	v_add_u32_e32 v0, 0x38000000, v0
                                        ; implicit-def: $vgpr23
.LBB2_482:                              ;   in Loop: Header=BB2_350 Depth=3
	s_andn2_saveexec_b64 s[76:77], s[76:77]
; %bb.483:                              ;   in Loop: Header=BB2_350 Depth=3
	v_cmp_gt_i16_sdwa vcc, sext(v2), v7 src0_sel:BYTE_0 src1_sel:DWORD
	v_cndmask_b32_e32 v0, v8, v54, vcc
	v_cmp_eq_u32_e32 vcc, 0, v23
	v_cndmask_b32_e32 v0, v55, v0, vcc
; %bb.484:                              ;   in Loop: Header=BB2_350 Depth=3
	s_or_b64 exec, exec, s[76:77]
.LBB2_485:                              ;   in Loop: Header=BB2_350 Depth=3
	s_or_b64 exec, exec, s[74:75]
.LBB2_486:                              ;   in Loop: Header=BB2_350 Depth=3
	s_or_b64 exec, exec, s[18:19]
	v_mul_f32_e32 v23, v62, v0
	v_and_b32_e32 v38, 0x7f800000, v23
	v_mov_b32_e32 v39, v3
	v_cmp_ne_u64_e32 vcc, s[56:57], v[38:39]
	v_and_b32_e32 v27, 0x7fffff, v23
	v_mov_b32_e32 v28, v3
                                        ; implicit-def: $vgpr59
	s_and_saveexec_b64 s[18:19], vcc
	s_xor_b64 s[74:75], exec, s[18:19]
	s_cbranch_execz .LBB2_500
; %bb.487:                              ;   in Loop: Header=BB2_350 Depth=3
	v_and_b32_e32 v38, 0x7fffffff, v23
	v_mov_b32_e32 v39, v3
	v_cmp_gt_u64_e32 vcc, s[58:59], v[38:39]
	v_and_b32_sdwa v0, v23, s48 dst_sel:DWORD dst_unused:UNUSED_PAD src0_sel:BYTE_3 src1_sel:DWORD
                                        ; implicit-def: $vgpr59
	s_and_saveexec_b64 s[18:19], vcc
	s_xor_b64 s[76:77], exec, s[18:19]
	s_cbranch_execz .LBB2_497
; %bb.488:                              ;   in Loop: Header=BB2_350 Depth=3
	v_mov_b32_e32 v59, 0
	v_cmp_ne_u32_e32 vcc, 0, v23
	s_and_saveexec_b64 s[78:79], vcc
	s_cbranch_execz .LBB2_496
; %bb.489:                              ;   in Loop: Header=BB2_350 Depth=3
	v_bfe_u32 v23, v23, 23, 8
	v_cmp_gt_u32_e64 s[18:19], s49, v23
	v_sub_u32_e32 v36, 0x71, v23
	v_cmp_eq_u32_e32 vcc, 0, v23
	v_cndmask_b32_e64 v36, 0, v36, s[18:19]
	v_or_b32_e32 v38, 0x800000, v27
	v_cndmask_b32_e32 v36, v36, v12, vcc
	v_cndmask_b32_e32 v27, v38, v27, vcc
	v_add_u32_e32 v38, 21, v36
	v_lshlrev_b64 v[38:39], v38, -1
	v_add_u32_e32 v42, 20, v36
	v_bfi_b32 v38, v38, 0, v27
	v_lshlrev_b64 v[42:43], v42, 1
	v_lshrrev_b64 v[27:28], v36, v[27:28]
	v_bfi_b32 v39, v39, 0, 0
	v_cmp_eq_u64_e64 s[18:19], v[38:39], v[42:43]
	v_mov_b32_e32 v43, v28
	v_mov_b32_e32 v42, v27
	s_and_saveexec_b64 s[88:89], s[18:19]
; %bb.490:                              ;   in Loop: Header=BB2_350 Depth=3
	v_bfe_u32 v28, v27, 21, 1
	v_add_co_u32_e64 v28, s[18:19], v27, v28
	v_add_co_u32_e64 v42, s[18:19], -1, v28
; %bb.491:                              ;   in Loop: Header=BB2_350 Depth=3
	s_or_b64 exec, exec, s[88:89]
	v_add_u32_e32 v23, 0xffffff81, v23
	v_cndmask_b32_e32 v23, v23, v48, vcc
	v_lshrrev_b32_e32 v28, 23, v27
	v_add3_u32 v38, v36, v23, v28
	v_add_u32_e32 v36, 14, v38
	v_and_b32_e32 v23, 0x1fffff, v42
	v_add_u32_e32 v27, v23, v27
	v_mov_b32_e32 v28, v3
	v_cmp_ne_u32_e32 vcc, 0, v36
                                        ; implicit-def: $vgpr23
	s_and_saveexec_b64 s[18:19], vcc
	s_xor_b64 s[18:19], exec, s[18:19]
; %bb.492:                              ;   in Loop: Header=BB2_350 Depth=3
	v_cmp_lt_u64_e32 vcc, s[60:61], v[27:28]
	v_add_u32_e32 v23, 15, v38
	v_cndmask_b32_e32 v23, v36, v23, vcc
	v_cndmask_b32_e64 v36, 0, 1, vcc
	v_lshrrev_b64 v[27:28], v36, v[27:28]
; %bb.493:                              ;   in Loop: Header=BB2_350 Depth=3
	s_andn2_saveexec_b64 s[18:19], s[18:19]
; %bb.494:                              ;   in Loop: Header=BB2_350 Depth=3
	v_bfe_u32 v23, v27, 23, 1
; %bb.495:                              ;   in Loop: Header=BB2_350 Depth=3
	s_or_b64 exec, exec, s[18:19]
	v_lshrrev_b64 v[27:28], 21, v[27:28]
	v_cmp_gt_i32_e32 vcc, 32, v23
	v_cndmask_b32_e32 v28, 0, v28, vcc
	v_cndmask_b32_e32 v27, 3, v27, vcc
	v_cmp_eq_u32_e32 vcc, 0, v23
	v_min_i32_e32 v23, 31, v23
	v_cmp_eq_u64_e64 s[18:19], 0, v[27:28]
	v_lshlrev_b32_e32 v23, 2, v23
	v_and_b32_e32 v23, 0xfc, v23
	v_and_or_b32 v23, v27, 3, v23
	s_and_b64 s[18:19], vcc, s[18:19]
	v_cndmask_b32_e64 v23, v23, 0, s[18:19]
	v_or_b32_e32 v59, v23, v0
.LBB2_496:                              ;   in Loop: Header=BB2_350 Depth=3
	s_or_b64 exec, exec, s[78:79]
                                        ; implicit-def: $vgpr0
.LBB2_497:                              ;   in Loop: Header=BB2_350 Depth=3
	s_andn2_saveexec_b64 s[18:19], s[76:77]
; %bb.498:                              ;   in Loop: Header=BB2_350 Depth=3
	v_or_b32_e32 v59, 0x7b, v0
; %bb.499:                              ;   in Loop: Header=BB2_350 Depth=3
	s_or_b64 exec, exec, s[18:19]
                                        ; implicit-def: $vgpr23
                                        ; implicit-def: $vgpr27_vgpr28
.LBB2_500:                              ;   in Loop: Header=BB2_350 Depth=3
	s_andn2_saveexec_b64 s[18:19], s[74:75]
	s_cbranch_execz .LBB2_506
; %bb.501:                              ;   in Loop: Header=BB2_350 Depth=3
	v_cmp_ne_u64_e32 vcc, 0, v[27:28]
                                        ; implicit-def: $vgpr59
	s_and_saveexec_b64 s[74:75], vcc
	s_xor_b64 s[74:75], exec, s[74:75]
; %bb.502:                              ;   in Loop: Header=BB2_350 Depth=3
	v_or_b32_sdwa v59, v23, s50 dst_sel:DWORD dst_unused:UNUSED_PAD src0_sel:BYTE_3 src1_sel:DWORD
                                        ; implicit-def: $vgpr23
; %bb.503:                              ;   in Loop: Header=BB2_350 Depth=3
	s_andn2_saveexec_b64 s[74:75], s[74:75]
; %bb.504:                              ;   in Loop: Header=BB2_350 Depth=3
	v_cmp_lt_i32_e32 vcc, -1, v23
	v_cndmask_b32_e32 v59, v49, v11, vcc
; %bb.505:                              ;   in Loop: Header=BB2_350 Depth=3
	s_or_b64 exec, exec, s[74:75]
.LBB2_506:                              ;   in Loop: Header=BB2_350 Depth=3
	s_or_b64 exec, exec, s[18:19]
	v_lshrrev_b16_e32 v27, 8, v2
	v_cmp_ne_u16_e32 vcc, 0, v27
	v_mov_b32_e32 v0, 0
	s_and_saveexec_b64 s[18:19], vcc
	s_cbranch_execz .LBB2_514
; %bb.507:                              ;   in Loop: Header=BB2_350 Depth=3
	v_cmp_ne_u16_e32 vcc, s48, v27
	v_bfrev_b32_e32 v0, 1
	s_and_saveexec_b64 s[74:75], vcc
	s_cbranch_execz .LBB2_513
; %bb.508:                              ;   in Loop: Header=BB2_350 Depth=3
	v_and_b32_e32 v0, 0x7c, v27
	v_and_b32_e32 v23, 3, v27
	v_cmp_ne_u32_e32 vcc, s39, v0
                                        ; implicit-def: $vgpr0
	s_and_saveexec_b64 s[76:77], vcc
	s_xor_b64 s[76:77], exec, s[76:77]
	s_cbranch_execz .LBB2_510
; %bb.509:                              ;   in Loop: Header=BB2_350 Depth=3
	v_ffbh_u32_e32 v36, v23
	v_min_u32_e32 v36, 32, v36
	v_mov_b32_e32 v28, v3
	v_subrev_u32_e32 v38, 29, v36
	v_bfe_u32 v0, v27, 2, 5
	v_lshlrev_b64 v[27:28], v38, v[27:28]
	v_cmp_eq_u32_e32 vcc, 0, v0
	v_and_b32_e32 v27, 3, v27
	v_sub_u32_e32 v28, 30, v36
	v_cndmask_b32_e32 v23, v23, v27, vcc
	v_lshlrev_b32_e32 v27, 16, v2
	v_cndmask_b32_e32 v0, v0, v28, vcc
	v_and_b32_e32 v27, 0x80000000, v27
	v_lshl_add_u32 v0, v0, 23, v27
	v_lshl_or_b32 v0, v23, 21, v0
	v_add_u32_e32 v0, 0x38000000, v0
                                        ; implicit-def: $vgpr23
.LBB2_510:                              ;   in Loop: Header=BB2_350 Depth=3
	s_andn2_saveexec_b64 s[76:77], s[76:77]
; %bb.511:                              ;   in Loop: Header=BB2_350 Depth=3
	v_cmp_lt_i16_e32 vcc, -1, v2
	v_cndmask_b32_e32 v0, v8, v54, vcc
	v_cmp_eq_u32_e32 vcc, 0, v23
	v_cndmask_b32_e32 v0, v55, v0, vcc
; %bb.512:                              ;   in Loop: Header=BB2_350 Depth=3
	s_or_b64 exec, exec, s[76:77]
.LBB2_513:                              ;   in Loop: Header=BB2_350 Depth=3
	s_or_b64 exec, exec, s[74:75]
.LBB2_514:                              ;   in Loop: Header=BB2_350 Depth=3
	s_or_b64 exec, exec, s[18:19]
	v_mul_f32_e32 v23, v62, v0
	v_and_b32_e32 v38, 0x7f800000, v23
	v_mov_b32_e32 v39, v3
	v_cmp_ne_u64_e32 vcc, s[56:57], v[38:39]
	v_and_b32_e32 v27, 0x7fffff, v23
	v_mov_b32_e32 v28, v3
                                        ; implicit-def: $vgpr57
	s_and_saveexec_b64 s[18:19], vcc
	s_xor_b64 s[74:75], exec, s[18:19]
	s_cbranch_execz .LBB2_528
; %bb.515:                              ;   in Loop: Header=BB2_350 Depth=3
	v_and_b32_e32 v38, 0x7fffffff, v23
	v_mov_b32_e32 v39, v3
	v_cmp_gt_u64_e32 vcc, s[58:59], v[38:39]
	v_and_b32_sdwa v0, v23, s48 dst_sel:DWORD dst_unused:UNUSED_PAD src0_sel:BYTE_3 src1_sel:DWORD
                                        ; implicit-def: $vgpr57
	s_and_saveexec_b64 s[18:19], vcc
	s_xor_b64 s[76:77], exec, s[18:19]
	s_cbranch_execz .LBB2_525
; %bb.516:                              ;   in Loop: Header=BB2_350 Depth=3
	v_mov_b32_e32 v57, 0
	v_cmp_ne_u32_e32 vcc, 0, v23
	s_and_saveexec_b64 s[78:79], vcc
	s_cbranch_execz .LBB2_524
; %bb.517:                              ;   in Loop: Header=BB2_350 Depth=3
	v_bfe_u32 v23, v23, 23, 8
	v_cmp_gt_u32_e64 s[18:19], s49, v23
	v_sub_u32_e32 v36, 0x71, v23
	v_cmp_eq_u32_e32 vcc, 0, v23
	v_cndmask_b32_e64 v36, 0, v36, s[18:19]
	v_or_b32_e32 v38, 0x800000, v27
	v_cndmask_b32_e32 v36, v36, v12, vcc
	v_cndmask_b32_e32 v27, v38, v27, vcc
	v_add_u32_e32 v38, 21, v36
	v_lshlrev_b64 v[38:39], v38, -1
	v_add_u32_e32 v42, 20, v36
	v_bfi_b32 v38, v38, 0, v27
	v_lshlrev_b64 v[42:43], v42, 1
	v_lshrrev_b64 v[27:28], v36, v[27:28]
	v_bfi_b32 v39, v39, 0, 0
	v_cmp_eq_u64_e64 s[18:19], v[38:39], v[42:43]
	v_mov_b32_e32 v43, v28
	v_mov_b32_e32 v42, v27
	s_and_saveexec_b64 s[88:89], s[18:19]
; %bb.518:                              ;   in Loop: Header=BB2_350 Depth=3
	v_bfe_u32 v28, v27, 21, 1
	v_add_co_u32_e64 v28, s[18:19], v27, v28
	v_add_co_u32_e64 v42, s[18:19], -1, v28
; %bb.519:                              ;   in Loop: Header=BB2_350 Depth=3
	s_or_b64 exec, exec, s[88:89]
	v_add_u32_e32 v23, 0xffffff81, v23
	v_cndmask_b32_e32 v23, v23, v48, vcc
	v_lshrrev_b32_e32 v28, 23, v27
	v_add3_u32 v38, v36, v23, v28
	v_add_u32_e32 v36, 14, v38
	v_and_b32_e32 v23, 0x1fffff, v42
	v_add_u32_e32 v27, v23, v27
	v_mov_b32_e32 v28, v3
	v_cmp_ne_u32_e32 vcc, 0, v36
                                        ; implicit-def: $vgpr23
	s_and_saveexec_b64 s[18:19], vcc
	s_xor_b64 s[18:19], exec, s[18:19]
; %bb.520:                              ;   in Loop: Header=BB2_350 Depth=3
	v_cmp_lt_u64_e32 vcc, s[60:61], v[27:28]
	v_add_u32_e32 v23, 15, v38
	v_cndmask_b32_e32 v23, v36, v23, vcc
	v_cndmask_b32_e64 v36, 0, 1, vcc
	v_lshrrev_b64 v[27:28], v36, v[27:28]
; %bb.521:                              ;   in Loop: Header=BB2_350 Depth=3
	s_andn2_saveexec_b64 s[18:19], s[18:19]
; %bb.522:                              ;   in Loop: Header=BB2_350 Depth=3
	v_bfe_u32 v23, v27, 23, 1
; %bb.523:                              ;   in Loop: Header=BB2_350 Depth=3
	s_or_b64 exec, exec, s[18:19]
	v_lshrrev_b64 v[27:28], 21, v[27:28]
	v_cmp_gt_i32_e32 vcc, 32, v23
	v_cndmask_b32_e32 v28, 0, v28, vcc
	v_cndmask_b32_e32 v27, 3, v27, vcc
	v_cmp_eq_u32_e32 vcc, 0, v23
	v_min_i32_e32 v23, 31, v23
	v_cmp_eq_u64_e64 s[18:19], 0, v[27:28]
	v_lshlrev_b32_e32 v23, 2, v23
	v_and_b32_e32 v23, 0xfc, v23
	v_and_or_b32 v23, v27, 3, v23
	s_and_b64 s[18:19], vcc, s[18:19]
	v_cndmask_b32_e64 v23, v23, 0, s[18:19]
	v_or_b32_e32 v57, v23, v0
.LBB2_524:                              ;   in Loop: Header=BB2_350 Depth=3
	s_or_b64 exec, exec, s[78:79]
                                        ; implicit-def: $vgpr0
.LBB2_525:                              ;   in Loop: Header=BB2_350 Depth=3
	s_andn2_saveexec_b64 s[18:19], s[76:77]
; %bb.526:                              ;   in Loop: Header=BB2_350 Depth=3
	v_or_b32_e32 v57, 0x7b, v0
; %bb.527:                              ;   in Loop: Header=BB2_350 Depth=3
	s_or_b64 exec, exec, s[18:19]
                                        ; implicit-def: $vgpr23
                                        ; implicit-def: $vgpr27_vgpr28
.LBB2_528:                              ;   in Loop: Header=BB2_350 Depth=3
	s_andn2_saveexec_b64 s[18:19], s[74:75]
	s_cbranch_execz .LBB2_534
; %bb.529:                              ;   in Loop: Header=BB2_350 Depth=3
	v_cmp_ne_u64_e32 vcc, 0, v[27:28]
                                        ; implicit-def: $vgpr57
	s_and_saveexec_b64 s[74:75], vcc
	s_xor_b64 s[74:75], exec, s[74:75]
; %bb.530:                              ;   in Loop: Header=BB2_350 Depth=3
	v_or_b32_sdwa v57, v23, s50 dst_sel:DWORD dst_unused:UNUSED_PAD src0_sel:BYTE_3 src1_sel:DWORD
                                        ; implicit-def: $vgpr23
; %bb.531:                              ;   in Loop: Header=BB2_350 Depth=3
	s_andn2_saveexec_b64 s[74:75], s[74:75]
; %bb.532:                              ;   in Loop: Header=BB2_350 Depth=3
	v_cmp_lt_i32_e32 vcc, -1, v23
	v_cndmask_b32_e32 v57, v49, v11, vcc
; %bb.533:                              ;   in Loop: Header=BB2_350 Depth=3
	s_or_b64 exec, exec, s[74:75]
.LBB2_534:                              ;   in Loop: Header=BB2_350 Depth=3
	s_or_b64 exec, exec, s[18:19]
	v_and_b32_sdwa v27, v2, s37 dst_sel:DWORD dst_unused:UNUSED_PAD src0_sel:WORD_1 src1_sel:DWORD
	v_lshrrev_b32_e32 v0, 16, v2
	v_cmp_ne_u16_e32 vcc, 0, v27
	v_mov_b32_e32 v23, 0
	s_and_saveexec_b64 s[18:19], vcc
	s_cbranch_execz .LBB2_542
; %bb.535:                              ;   in Loop: Header=BB2_350 Depth=3
	v_cmp_ne_u16_e32 vcc, s48, v27
	v_bfrev_b32_e32 v23, 1
	s_and_saveexec_b64 s[74:75], vcc
	s_cbranch_execz .LBB2_541
; %bb.536:                              ;   in Loop: Header=BB2_350 Depth=3
	v_and_b32_e32 v23, 0x7c0000, v2
	v_bfe_u32 v27, v2, 16, 2
	v_cmp_ne_u32_e32 vcc, s51, v23
                                        ; implicit-def: $vgpr23
	s_and_saveexec_b64 s[76:77], vcc
	s_xor_b64 s[76:77], exec, s[76:77]
	s_cbranch_execz .LBB2_538
; %bb.537:                              ;   in Loop: Header=BB2_350 Depth=3
	v_ffbh_u32_e32 v28, v27
	v_min_u32_e32 v28, 32, v28
	v_subrev_u32_e32 v36, 29, v28
	v_lshlrev_b64 v[38:39], v36, v[0:1]
	v_bfe_u32 v23, v2, 18, 5
	v_sub_u32_e32 v0, 30, v28
	v_and_b32_e32 v28, 3, v38
	v_cmp_eq_u32_e32 vcc, 0, v23
	v_cndmask_b32_e32 v0, v23, v0, vcc
	v_cndmask_b32_e32 v23, v27, v28, vcc
	v_lshlrev_b32_e32 v27, 8, v2
	v_and_b32_e32 v27, 0x80000000, v27
	v_lshl_add_u32 v0, v0, 23, v27
	v_lshl_or_b32 v0, v23, 21, v0
	v_add_u32_e32 v23, 0x38000000, v0
                                        ; implicit-def: $vgpr27
                                        ; implicit-def: $vgpr0
.LBB2_538:                              ;   in Loop: Header=BB2_350 Depth=3
	s_andn2_saveexec_b64 s[76:77], s[76:77]
; %bb.539:                              ;   in Loop: Header=BB2_350 Depth=3
	v_cmp_gt_i16_sdwa vcc, sext(v0), v7 src0_sel:BYTE_0 src1_sel:DWORD
	v_cndmask_b32_e32 v0, v8, v54, vcc
	v_cmp_eq_u32_e32 vcc, 0, v27
	v_cndmask_b32_e32 v23, v55, v0, vcc
; %bb.540:                              ;   in Loop: Header=BB2_350 Depth=3
	s_or_b64 exec, exec, s[76:77]
.LBB2_541:                              ;   in Loop: Header=BB2_350 Depth=3
	s_or_b64 exec, exec, s[74:75]
.LBB2_542:                              ;   in Loop: Header=BB2_350 Depth=3
	s_or_b64 exec, exec, s[18:19]
	v_mul_f32_e32 v36, v62, v23
	v_and_b32_e32 v38, 0x7f800000, v36
	v_mov_b32_e32 v39, v3
	v_cmp_ne_u64_e32 vcc, s[56:57], v[38:39]
	v_and_b32_e32 v27, 0x7fffff, v36
	v_mov_b32_e32 v28, v3
                                        ; implicit-def: $vgpr23
	s_and_saveexec_b64 s[18:19], vcc
	s_xor_b64 s[74:75], exec, s[18:19]
	s_cbranch_execz .LBB2_556
; %bb.543:                              ;   in Loop: Header=BB2_350 Depth=3
	v_and_b32_e32 v38, 0x7fffffff, v36
	v_mov_b32_e32 v39, v3
	v_cmp_gt_u64_e32 vcc, s[58:59], v[38:39]
	v_and_b32_sdwa v0, v36, s48 dst_sel:DWORD dst_unused:UNUSED_PAD src0_sel:BYTE_3 src1_sel:DWORD
                                        ; implicit-def: $vgpr23
	s_and_saveexec_b64 s[18:19], vcc
	s_xor_b64 s[76:77], exec, s[18:19]
	s_cbranch_execz .LBB2_553
; %bb.544:                              ;   in Loop: Header=BB2_350 Depth=3
	v_mov_b32_e32 v23, 0
	v_cmp_ne_u32_e32 vcc, 0, v36
	s_and_saveexec_b64 s[78:79], vcc
	s_cbranch_execz .LBB2_552
; %bb.545:                              ;   in Loop: Header=BB2_350 Depth=3
	v_bfe_u32 v23, v36, 23, 8
	v_cmp_gt_u32_e64 s[18:19], s49, v23
	v_sub_u32_e32 v36, 0x71, v23
	v_cmp_eq_u32_e32 vcc, 0, v23
	v_cndmask_b32_e64 v36, 0, v36, s[18:19]
	v_or_b32_e32 v38, 0x800000, v27
	v_cndmask_b32_e32 v36, v36, v12, vcc
	v_cndmask_b32_e32 v27, v38, v27, vcc
	v_add_u32_e32 v38, 21, v36
	v_lshlrev_b64 v[38:39], v38, -1
	v_add_u32_e32 v42, 20, v36
	v_bfi_b32 v38, v38, 0, v27
	v_lshlrev_b64 v[42:43], v42, 1
	v_lshrrev_b64 v[27:28], v36, v[27:28]
	v_bfi_b32 v39, v39, 0, 0
	v_cmp_eq_u64_e64 s[18:19], v[38:39], v[42:43]
	v_mov_b32_e32 v43, v28
	v_mov_b32_e32 v42, v27
	s_and_saveexec_b64 s[88:89], s[18:19]
; %bb.546:                              ;   in Loop: Header=BB2_350 Depth=3
	v_bfe_u32 v28, v27, 21, 1
	v_add_co_u32_e64 v28, s[18:19], v27, v28
	v_add_co_u32_e64 v42, s[18:19], -1, v28
; %bb.547:                              ;   in Loop: Header=BB2_350 Depth=3
	s_or_b64 exec, exec, s[88:89]
	v_add_u32_e32 v23, 0xffffff81, v23
	v_cndmask_b32_e32 v23, v23, v48, vcc
	v_lshrrev_b32_e32 v28, 23, v27
	v_add3_u32 v38, v36, v23, v28
	v_add_u32_e32 v36, 14, v38
	v_and_b32_e32 v23, 0x1fffff, v42
	v_add_u32_e32 v27, v23, v27
	v_mov_b32_e32 v28, v3
	v_cmp_ne_u32_e32 vcc, 0, v36
                                        ; implicit-def: $vgpr23
	s_and_saveexec_b64 s[18:19], vcc
	s_xor_b64 s[18:19], exec, s[18:19]
; %bb.548:                              ;   in Loop: Header=BB2_350 Depth=3
	v_cmp_lt_u64_e32 vcc, s[60:61], v[27:28]
	v_add_u32_e32 v23, 15, v38
	v_cndmask_b32_e32 v23, v36, v23, vcc
	v_cndmask_b32_e64 v36, 0, 1, vcc
	v_lshrrev_b64 v[27:28], v36, v[27:28]
; %bb.549:                              ;   in Loop: Header=BB2_350 Depth=3
	s_andn2_saveexec_b64 s[18:19], s[18:19]
; %bb.550:                              ;   in Loop: Header=BB2_350 Depth=3
	v_bfe_u32 v23, v27, 23, 1
; %bb.551:                              ;   in Loop: Header=BB2_350 Depth=3
	s_or_b64 exec, exec, s[18:19]
	v_lshrrev_b64 v[27:28], 21, v[27:28]
	v_cmp_gt_i32_e32 vcc, 32, v23
	v_cndmask_b32_e32 v28, 0, v28, vcc
	v_cndmask_b32_e32 v27, 3, v27, vcc
	v_cmp_eq_u32_e32 vcc, 0, v23
	v_min_i32_e32 v23, 31, v23
	v_cmp_eq_u64_e64 s[18:19], 0, v[27:28]
	v_lshlrev_b32_e32 v23, 2, v23
	v_and_b32_e32 v23, 0xfc, v23
	v_and_or_b32 v23, v27, 3, v23
	s_and_b64 s[18:19], vcc, s[18:19]
	v_cndmask_b32_e64 v23, v23, 0, s[18:19]
	v_or_b32_e32 v23, v23, v0
.LBB2_552:                              ;   in Loop: Header=BB2_350 Depth=3
	s_or_b64 exec, exec, s[78:79]
                                        ; implicit-def: $vgpr0
.LBB2_553:                              ;   in Loop: Header=BB2_350 Depth=3
	s_andn2_saveexec_b64 s[18:19], s[76:77]
; %bb.554:                              ;   in Loop: Header=BB2_350 Depth=3
	v_or_b32_e32 v23, 0x7b, v0
; %bb.555:                              ;   in Loop: Header=BB2_350 Depth=3
	s_or_b64 exec, exec, s[18:19]
                                        ; implicit-def: $vgpr36
                                        ; implicit-def: $vgpr27_vgpr28
.LBB2_556:                              ;   in Loop: Header=BB2_350 Depth=3
	s_andn2_saveexec_b64 s[18:19], s[74:75]
	s_cbranch_execz .LBB2_562
; %bb.557:                              ;   in Loop: Header=BB2_350 Depth=3
	v_cmp_ne_u64_e32 vcc, 0, v[27:28]
                                        ; implicit-def: $vgpr23
	s_and_saveexec_b64 s[74:75], vcc
	s_xor_b64 s[74:75], exec, s[74:75]
; %bb.558:                              ;   in Loop: Header=BB2_350 Depth=3
	v_or_b32_sdwa v23, v36, s50 dst_sel:DWORD dst_unused:UNUSED_PAD src0_sel:BYTE_3 src1_sel:DWORD
                                        ; implicit-def: $vgpr36
; %bb.559:                              ;   in Loop: Header=BB2_350 Depth=3
	s_andn2_saveexec_b64 s[74:75], s[74:75]
; %bb.560:                              ;   in Loop: Header=BB2_350 Depth=3
	v_cmp_lt_i32_e32 vcc, -1, v36
	v_cndmask_b32_e32 v23, v49, v11, vcc
; %bb.561:                              ;   in Loop: Header=BB2_350 Depth=3
	s_or_b64 exec, exec, s[74:75]
.LBB2_562:                              ;   in Loop: Header=BB2_350 Depth=3
	s_or_b64 exec, exec, s[18:19]
	v_cmp_lt_u32_e32 vcc, s47, v2
	v_mov_b32_e32 v27, 0
	s_and_saveexec_b64 s[18:19], vcc
	s_cbranch_execz .LBB2_570
; %bb.563:                              ;   in Loop: Header=BB2_350 Depth=3
	v_lshrrev_b32_e32 v0, 24, v2
	v_cmp_ne_u32_e32 vcc, s48, v0
	v_bfrev_b32_e32 v27, 1
	s_and_saveexec_b64 s[74:75], vcc
	s_cbranch_execz .LBB2_569
; %bb.564:                              ;   in Loop: Header=BB2_350 Depth=3
	v_and_b32_e32 v27, 0x7c000000, v2
	v_bfe_u32 v28, v2, 24, 2
	v_cmp_ne_u32_e32 vcc, s52, v27
                                        ; implicit-def: $vgpr27
	s_and_saveexec_b64 s[76:77], vcc
	s_xor_b64 s[76:77], exec, s[76:77]
	s_cbranch_execz .LBB2_566
; %bb.565:                              ;   in Loop: Header=BB2_350 Depth=3
	v_ffbh_u32_e32 v36, v28
	v_min_u32_e32 v36, 32, v36
	v_subrev_u32_e32 v38, 29, v36
	v_bfe_u32 v27, v2, 26, 5
	v_lshlrev_b64 v[38:39], v38, v[0:1]
	v_sub_u32_e32 v0, 30, v36
	v_cmp_eq_u32_e32 vcc, 0, v27
	v_and_b32_e32 v36, 3, v38
	v_cndmask_b32_e32 v0, v27, v0, vcc
	v_and_b32_e32 v2, 0x80000000, v2
	v_cndmask_b32_e32 v27, v28, v36, vcc
	v_lshl_add_u32 v0, v0, 23, v2
	v_lshl_or_b32 v0, v27, 21, v0
	v_add_u32_e32 v27, 0x38000000, v0
                                        ; implicit-def: $vgpr28
.LBB2_566:                              ;   in Loop: Header=BB2_350 Depth=3
	s_andn2_saveexec_b64 s[76:77], s[76:77]
; %bb.567:                              ;   in Loop: Header=BB2_350 Depth=3
	v_cmp_lt_i32_e32 vcc, -1, v2
	v_cndmask_b32_e32 v0, v8, v54, vcc
	v_cmp_eq_u32_e32 vcc, 0, v28
	v_cndmask_b32_e32 v27, v55, v0, vcc
; %bb.568:                              ;   in Loop: Header=BB2_350 Depth=3
	s_or_b64 exec, exec, s[76:77]
.LBB2_569:                              ;   in Loop: Header=BB2_350 Depth=3
	s_or_b64 exec, exec, s[74:75]
.LBB2_570:                              ;   in Loop: Header=BB2_350 Depth=3
	s_or_b64 exec, exec, s[18:19]
	v_mul_f32_e32 v27, v62, v27
	v_and_b32_e32 v38, 0x7f800000, v27
	v_mov_b32_e32 v39, v3
	v_cmp_ne_u64_e32 vcc, s[56:57], v[38:39]
	v_and_b32_e32 v2, 0x7fffff, v27
                                        ; implicit-def: $vgpr36
	s_and_saveexec_b64 s[18:19], vcc
	s_xor_b64 s[74:75], exec, s[18:19]
	s_cbranch_execz .LBB2_584
; %bb.571:                              ;   in Loop: Header=BB2_350 Depth=3
	v_and_b32_e32 v38, 0x7fffffff, v27
	v_mov_b32_e32 v39, v3
	v_cmp_gt_u64_e32 vcc, s[58:59], v[38:39]
	v_and_b32_sdwa v0, v27, s48 dst_sel:DWORD dst_unused:UNUSED_PAD src0_sel:BYTE_3 src1_sel:DWORD
                                        ; implicit-def: $vgpr36
	s_and_saveexec_b64 s[18:19], vcc
	s_xor_b64 s[76:77], exec, s[18:19]
	s_cbranch_execz .LBB2_581
; %bb.572:                              ;   in Loop: Header=BB2_350 Depth=3
	v_mov_b32_e32 v36, 0
	v_cmp_ne_u32_e32 vcc, 0, v27
	s_and_saveexec_b64 s[78:79], vcc
	s_cbranch_execz .LBB2_580
; %bb.573:                              ;   in Loop: Header=BB2_350 Depth=3
	v_bfe_u32 v36, v27, 23, 8
	v_cmp_gt_u32_e64 s[18:19], s49, v36
	v_sub_u32_e32 v27, 0x71, v36
	v_cmp_eq_u32_e32 vcc, 0, v36
	v_cndmask_b32_e64 v27, 0, v27, s[18:19]
	v_cndmask_b32_e32 v38, v27, v12, vcc
	v_or_b32_e32 v28, 0x800000, v2
	v_add_u32_e32 v27, 21, v38
	v_cndmask_b32_e32 v2, v28, v2, vcc
	v_lshlrev_b64 v[27:28], v27, -1
	v_add_u32_e32 v39, 20, v38
	v_lshlrev_b64 v[42:43], v39, 1
	v_bfi_b32 v28, v28, 0, 0
	v_bfi_b32 v27, v27, 0, v2
	v_cmp_eq_u64_e64 s[18:19], v[27:28], v[42:43]
	v_lshrrev_b64 v[27:28], v38, v[2:3]
	v_mov_b32_e32 v43, v28
	v_mov_b32_e32 v42, v27
	s_and_saveexec_b64 s[88:89], s[18:19]
; %bb.574:                              ;   in Loop: Header=BB2_350 Depth=3
	v_bfe_u32 v2, v27, 21, 1
	v_add_co_u32_e64 v2, s[18:19], v27, v2
	v_add_co_u32_e64 v42, s[18:19], -1, v2
; %bb.575:                              ;   in Loop: Header=BB2_350 Depth=3
	s_or_b64 exec, exec, s[88:89]
	v_add_u32_e32 v2, 0xffffff81, v36
	v_cndmask_b32_e32 v2, v2, v48, vcc
	v_lshrrev_b32_e32 v28, 23, v27
	v_add3_u32 v39, v38, v2, v28
	v_add_u32_e32 v38, 14, v39
	v_and_b32_e32 v2, 0x1fffff, v42
	v_add_u32_e32 v2, v2, v27
	v_cmp_ne_u32_e32 vcc, 0, v38
                                        ; implicit-def: $vgpr27_vgpr28
                                        ; implicit-def: $vgpr36
	s_and_saveexec_b64 s[18:19], vcc
	s_xor_b64 s[18:19], exec, s[18:19]
; %bb.576:                              ;   in Loop: Header=BB2_350 Depth=3
	v_cmp_lt_u64_e32 vcc, s[60:61], v[2:3]
	v_add_u32_e32 v27, 15, v39
	v_cndmask_b32_e32 v36, v38, v27, vcc
	v_cndmask_b32_e64 v27, 0, 1, vcc
	v_lshrrev_b64 v[27:28], v27, v[2:3]
; %bb.577:                              ;   in Loop: Header=BB2_350 Depth=3
	s_andn2_saveexec_b64 s[18:19], s[18:19]
; %bb.578:                              ;   in Loop: Header=BB2_350 Depth=3
	v_mov_b32_e32 v28, v3
	v_bfe_u32 v36, v2, 23, 1
	v_mov_b32_e32 v27, v2
; %bb.579:                              ;   in Loop: Header=BB2_350 Depth=3
	s_or_b64 exec, exec, s[18:19]
	v_lshrrev_b64 v[27:28], 21, v[27:28]
	v_cmp_gt_i32_e32 vcc, 32, v36
	v_cndmask_b32_e32 v28, 0, v28, vcc
	v_cndmask_b32_e32 v27, 3, v27, vcc
	v_min_i32_e32 v2, 31, v36
	v_cmp_eq_u64_e64 s[18:19], 0, v[27:28]
	v_lshlrev_b32_e32 v2, 2, v2
	v_cmp_eq_u32_e32 vcc, 0, v36
	v_and_b32_e32 v2, 0xfc, v2
	v_and_or_b32 v2, v27, 3, v2
	s_and_b64 s[18:19], vcc, s[18:19]
	v_cndmask_b32_e64 v2, v2, 0, s[18:19]
	v_or_b32_e32 v36, v2, v0
.LBB2_580:                              ;   in Loop: Header=BB2_350 Depth=3
	s_or_b64 exec, exec, s[78:79]
                                        ; implicit-def: $vgpr0
.LBB2_581:                              ;   in Loop: Header=BB2_350 Depth=3
	s_andn2_saveexec_b64 s[18:19], s[76:77]
; %bb.582:                              ;   in Loop: Header=BB2_350 Depth=3
	v_or_b32_e32 v36, 0x7b, v0
; %bb.583:                              ;   in Loop: Header=BB2_350 Depth=3
	s_or_b64 exec, exec, s[18:19]
                                        ; implicit-def: $vgpr27
.LBB2_584:                              ;   in Loop: Header=BB2_350 Depth=3
	s_andn2_saveexec_b64 s[18:19], s[74:75]
	s_cbranch_execz .LBB2_590
; %bb.585:                              ;   in Loop: Header=BB2_350 Depth=3
	v_cmp_ne_u64_e32 vcc, 0, v[2:3]
                                        ; implicit-def: $vgpr36
	s_and_saveexec_b64 s[74:75], vcc
	s_xor_b64 s[74:75], exec, s[74:75]
; %bb.586:                              ;   in Loop: Header=BB2_350 Depth=3
	v_or_b32_sdwa v36, v27, s50 dst_sel:DWORD dst_unused:UNUSED_PAD src0_sel:BYTE_3 src1_sel:DWORD
                                        ; implicit-def: $vgpr27
; %bb.587:                              ;   in Loop: Header=BB2_350 Depth=3
	s_andn2_saveexec_b64 s[74:75], s[74:75]
; %bb.588:                              ;   in Loop: Header=BB2_350 Depth=3
	v_cmp_lt_i32_e32 vcc, -1, v27
	v_cndmask_b32_e32 v36, v49, v11, vcc
; %bb.589:                              ;   in Loop: Header=BB2_350 Depth=3
	s_or_b64 exec, exec, s[74:75]
.LBB2_590:                              ;   in Loop: Header=BB2_350 Depth=3
	s_or_b64 exec, exec, s[18:19]
	s_waitcnt vmcnt(0)
	v_cmp_ne_u16_sdwa s[74:75], v19, v3 src0_sel:BYTE_0 src1_sel:DWORD
	v_mov_b32_e32 v28, 0
	v_mov_b32_e32 v27, 0
	s_and_saveexec_b64 s[18:19], s[74:75]
	s_cbranch_execz .LBB2_598
; %bb.591:                              ;   in Loop: Header=BB2_350 Depth=3
	v_cmp_ne_u16_sdwa s[76:77], sext(v19), s38 src0_sel:BYTE_0 src1_sel:DWORD
	v_bfrev_b32_e32 v27, 1
	s_and_saveexec_b64 s[74:75], s[76:77]
	s_cbranch_execz .LBB2_597
; %bb.592:                              ;   in Loop: Header=BB2_350 Depth=3
	v_and_b32_e32 v2, 0x7c, v19
	v_and_b32_e32 v0, 3, v19
	v_cmp_ne_u32_e32 vcc, s39, v2
                                        ; implicit-def: $vgpr27
	s_and_saveexec_b64 s[76:77], vcc
	s_xor_b64 s[76:77], exec, s[76:77]
	s_cbranch_execz .LBB2_594
; %bb.593:                              ;   in Loop: Header=BB2_350 Depth=3
	v_ffbh_u32_e32 v27, v0
	v_min_u32_e32 v27, 32, v27
	v_bfe_u32 v2, v19, 2, 5
	v_subrev_u32_e32 v38, 29, v27
	v_lshlrev_b64 v[38:39], v38, v[19:20]
	v_sub_u32_e32 v20, 30, v27
	v_cmp_eq_u32_e32 vcc, 0, v2
	v_cndmask_b32_e32 v2, v2, v20, vcc
	v_lshlrev_b32_e32 v20, 24, v19
	v_and_b32_e32 v27, 3, v38
	v_and_b32_e32 v20, 0x80000000, v20
	v_cndmask_b32_e32 v0, v0, v27, vcc
	v_lshl_add_u32 v2, v2, 23, v20
	v_lshl_or_b32 v0, v0, 21, v2
	v_add_u32_e32 v27, 0x38000000, v0
                                        ; implicit-def: $vgpr0
.LBB2_594:                              ;   in Loop: Header=BB2_350 Depth=3
	s_andn2_saveexec_b64 s[76:77], s[76:77]
; %bb.595:                              ;   in Loop: Header=BB2_350 Depth=3
	v_cmp_gt_i16_sdwa vcc, sext(v19), v7 src0_sel:BYTE_0 src1_sel:DWORD
	v_cndmask_b32_e32 v2, v8, v54, vcc
	v_cmp_eq_u32_e32 vcc, 0, v0
	v_cndmask_b32_e32 v27, v55, v2, vcc
; %bb.596:                              ;   in Loop: Header=BB2_350 Depth=3
	s_or_b64 exec, exec, s[76:77]
.LBB2_597:                              ;   in Loop: Header=BB2_350 Depth=3
	s_or_b64 exec, exec, s[74:75]
.LBB2_598:                              ;   in Loop: Header=BB2_350 Depth=3
	s_or_b64 exec, exec, s[18:19]
	v_lshl_or_b32 v0, v24, 8, v17
	v_lshlrev_b32_e32 v2, 16, v37
	v_lshlrev_b32_e32 v20, 24, v56
	v_or3_b32 v2, v2, v20, v0
	v_cmp_ne_u32_e32 vcc, 0, v17
	s_and_saveexec_b64 s[74:75], vcc
	s_cbranch_execz .LBB2_606
; %bb.599:                              ;   in Loop: Header=BB2_350 Depth=3
	v_cmp_ne_u32_e32 vcc, s48, v17
	v_bfrev_b32_e32 v28, 1
	s_and_saveexec_b64 s[76:77], vcc
	s_cbranch_execz .LBB2_605
; %bb.600:                              ;   in Loop: Header=BB2_350 Depth=3
	v_and_b32_e32 v24, 0x7c, v17
	v_and_b32_e32 v20, 3, v17
	v_cmp_ne_u32_e32 vcc, s39, v24
                                        ; implicit-def: $vgpr28
	s_and_saveexec_b64 s[18:19], vcc
	s_xor_b64 s[18:19], exec, s[18:19]
	s_cbranch_execz .LBB2_602
; %bb.601:                              ;   in Loop: Header=BB2_350 Depth=3
	v_ffbh_u32_e32 v28, v20
	v_min_u32_e32 v28, 32, v28
	v_subrev_u32_e32 v37, 29, v28
	v_bfe_u32 v24, v17, 2, 5
	v_lshlrev_b64 v[37:38], v37, v[2:3]
	v_sub_u32_e32 v28, 30, v28
	v_cmp_eq_u32_e32 vcc, 0, v24
	v_lshlrev_b32_e32 v17, 24, v17
	v_and_b32_e32 v37, 3, v37
	v_cndmask_b32_e32 v24, v24, v28, vcc
	v_and_b32_e32 v17, 0x80000000, v17
	v_cndmask_b32_e32 v20, v20, v37, vcc
	v_lshl_add_u32 v17, v24, 23, v17
	v_lshl_or_b32 v17, v20, 21, v17
	v_add_u32_e32 v28, 0x38000000, v17
                                        ; implicit-def: $vgpr20
                                        ; implicit-def: $vgpr17
.LBB2_602:                              ;   in Loop: Header=BB2_350 Depth=3
	s_andn2_saveexec_b64 s[78:79], s[18:19]
; %bb.603:                              ;   in Loop: Header=BB2_350 Depth=3
	v_and_b32_e32 v17, 0x80, v17
	v_cmp_eq_u32_e64 s[18:19], 0, v17
	v_cmp_eq_u32_e32 vcc, 0, v20
	v_cndmask_b32_e64 v17, v8, v54, s[18:19]
	v_cndmask_b32_e32 v28, v55, v17, vcc
; %bb.604:                              ;   in Loop: Header=BB2_350 Depth=3
	s_or_b64 exec, exec, s[78:79]
.LBB2_605:                              ;   in Loop: Header=BB2_350 Depth=3
	s_or_b64 exec, exec, s[76:77]
.LBB2_606:                              ;   in Loop: Header=BB2_350 Depth=3
	s_or_b64 exec, exec, s[74:75]
	v_add_f32_e32 v24, v27, v28
	v_and_b32_e32 v37, 0x7f800000, v24
	v_mov_b32_e32 v38, v3
	v_cmp_ne_u64_e32 vcc, s[56:57], v[37:38]
	v_and_b32_e32 v27, 0x7fffff, v24
	v_mov_b32_e32 v28, v3
                                        ; implicit-def: $vgpr17
	s_and_saveexec_b64 s[18:19], vcc
	s_xor_b64 s[74:75], exec, s[18:19]
	s_cbranch_execz .LBB2_620
; %bb.607:                              ;   in Loop: Header=BB2_350 Depth=3
	v_and_b32_e32 v37, 0x7fffffff, v24
	v_mov_b32_e32 v38, v3
	v_cmp_gt_u64_e32 vcc, s[58:59], v[37:38]
	v_and_b32_sdwa v20, v24, s48 dst_sel:DWORD dst_unused:UNUSED_PAD src0_sel:BYTE_3 src1_sel:DWORD
                                        ; implicit-def: $vgpr17
	s_and_saveexec_b64 s[18:19], vcc
	s_xor_b64 s[76:77], exec, s[18:19]
	s_cbranch_execz .LBB2_617
; %bb.608:                              ;   in Loop: Header=BB2_350 Depth=3
	v_mov_b32_e32 v17, 0
	v_cmp_ne_u32_e32 vcc, 0, v24
	s_and_saveexec_b64 s[78:79], vcc
	s_cbranch_execz .LBB2_616
; %bb.609:                              ;   in Loop: Header=BB2_350 Depth=3
	v_bfe_u32 v17, v24, 23, 8
	v_cmp_gt_u32_e64 s[18:19], s49, v17
	v_sub_u32_e32 v24, 0x71, v17
	v_cmp_eq_u32_e32 vcc, 0, v17
	v_cndmask_b32_e64 v24, 0, v24, s[18:19]
	v_or_b32_e32 v37, 0x800000, v27
	v_cndmask_b32_e32 v24, v24, v12, vcc
	v_cndmask_b32_e32 v27, v37, v27, vcc
	v_add_u32_e32 v37, 21, v24
	v_lshlrev_b64 v[37:38], v37, -1
	v_add_u32_e32 v39, 20, v24
	v_bfi_b32 v37, v37, 0, v27
	v_lshlrev_b64 v[42:43], v39, 1
	v_lshrrev_b64 v[27:28], v24, v[27:28]
	v_bfi_b32 v38, v38, 0, 0
	v_cmp_eq_u64_e64 s[18:19], v[37:38], v[42:43]
	v_mov_b32_e32 v43, v28
	v_mov_b32_e32 v42, v27
	s_and_saveexec_b64 s[88:89], s[18:19]
; %bb.610:                              ;   in Loop: Header=BB2_350 Depth=3
	v_bfe_u32 v28, v27, 21, 1
	v_add_co_u32_e64 v28, s[18:19], v27, v28
	v_add_co_u32_e64 v42, s[18:19], -1, v28
; %bb.611:                              ;   in Loop: Header=BB2_350 Depth=3
	s_or_b64 exec, exec, s[88:89]
	v_add_u32_e32 v17, 0xffffff81, v17
	v_cndmask_b32_e32 v17, v17, v48, vcc
	v_lshrrev_b32_e32 v28, 23, v27
	v_add3_u32 v37, v24, v17, v28
	v_add_u32_e32 v24, 14, v37
	v_and_b32_e32 v17, 0x1fffff, v42
	v_add_u32_e32 v27, v17, v27
	v_mov_b32_e32 v28, v3
	v_cmp_ne_u32_e32 vcc, 0, v24
                                        ; implicit-def: $vgpr17
	s_and_saveexec_b64 s[18:19], vcc
	s_xor_b64 s[18:19], exec, s[18:19]
; %bb.612:                              ;   in Loop: Header=BB2_350 Depth=3
	v_cmp_lt_u64_e32 vcc, s[60:61], v[27:28]
	v_add_u32_e32 v17, 15, v37
	v_cndmask_b32_e32 v17, v24, v17, vcc
	v_cndmask_b32_e64 v24, 0, 1, vcc
	v_lshrrev_b64 v[27:28], v24, v[27:28]
; %bb.613:                              ;   in Loop: Header=BB2_350 Depth=3
	s_andn2_saveexec_b64 s[18:19], s[18:19]
; %bb.614:                              ;   in Loop: Header=BB2_350 Depth=3
	v_bfe_u32 v17, v27, 23, 1
; %bb.615:                              ;   in Loop: Header=BB2_350 Depth=3
	s_or_b64 exec, exec, s[18:19]
	v_lshrrev_b64 v[27:28], 21, v[27:28]
	v_cmp_gt_i32_e32 vcc, 32, v17
	v_cndmask_b32_e32 v28, 0, v28, vcc
	v_cndmask_b32_e32 v27, 3, v27, vcc
	v_cmp_eq_u32_e32 vcc, 0, v17
	v_min_i32_e32 v17, 31, v17
	v_cmp_eq_u64_e64 s[18:19], 0, v[27:28]
	v_lshlrev_b32_e32 v17, 2, v17
	v_and_b32_e32 v17, 0xfc, v17
	v_and_or_b32 v17, v27, 3, v17
	s_and_b64 s[18:19], vcc, s[18:19]
	v_cndmask_b32_e64 v17, v17, 0, s[18:19]
	v_or_b32_e32 v17, v17, v20
.LBB2_616:                              ;   in Loop: Header=BB2_350 Depth=3
	s_or_b64 exec, exec, s[78:79]
                                        ; implicit-def: $vgpr20
.LBB2_617:                              ;   in Loop: Header=BB2_350 Depth=3
	s_andn2_saveexec_b64 s[18:19], s[76:77]
; %bb.618:                              ;   in Loop: Header=BB2_350 Depth=3
	v_or_b32_e32 v17, 0x7b, v20
; %bb.619:                              ;   in Loop: Header=BB2_350 Depth=3
	s_or_b64 exec, exec, s[18:19]
                                        ; implicit-def: $vgpr24
                                        ; implicit-def: $vgpr27_vgpr28
.LBB2_620:                              ;   in Loop: Header=BB2_350 Depth=3
	s_andn2_saveexec_b64 s[18:19], s[74:75]
	s_cbranch_execz .LBB2_626
; %bb.621:                              ;   in Loop: Header=BB2_350 Depth=3
	v_cmp_ne_u64_e32 vcc, 0, v[27:28]
                                        ; implicit-def: $vgpr17
	s_and_saveexec_b64 s[74:75], vcc
	s_xor_b64 s[74:75], exec, s[74:75]
; %bb.622:                              ;   in Loop: Header=BB2_350 Depth=3
	v_or_b32_sdwa v17, v24, s50 dst_sel:DWORD dst_unused:UNUSED_PAD src0_sel:BYTE_3 src1_sel:DWORD
                                        ; implicit-def: $vgpr24
; %bb.623:                              ;   in Loop: Header=BB2_350 Depth=3
	s_andn2_saveexec_b64 s[74:75], s[74:75]
; %bb.624:                              ;   in Loop: Header=BB2_350 Depth=3
	v_cmp_lt_i32_e32 vcc, -1, v24
	v_cndmask_b32_e32 v17, v49, v11, vcc
; %bb.625:                              ;   in Loop: Header=BB2_350 Depth=3
	s_or_b64 exec, exec, s[74:75]
.LBB2_626:                              ;   in Loop: Header=BB2_350 Depth=3
	s_or_b64 exec, exec, s[18:19]
	v_lshrrev_b16_e32 v27, 8, v19
	v_cmp_ne_u16_e32 vcc, 0, v27
	v_mov_b32_e32 v20, 0
	v_mov_b32_e32 v24, 0
	s_and_saveexec_b64 s[18:19], vcc
	s_cbranch_execz .LBB2_634
; %bb.627:                              ;   in Loop: Header=BB2_350 Depth=3
	v_cmp_ne_u16_e32 vcc, s48, v27
	v_bfrev_b32_e32 v24, 1
	s_and_saveexec_b64 s[74:75], vcc
	s_cbranch_execz .LBB2_633
; %bb.628:                              ;   in Loop: Header=BB2_350 Depth=3
	v_and_b32_e32 v24, 0x7c, v27
	v_and_b32_e32 v37, 3, v27
	v_cmp_ne_u32_e32 vcc, s39, v24
                                        ; implicit-def: $vgpr24
	s_and_saveexec_b64 s[76:77], vcc
	s_xor_b64 s[76:77], exec, s[76:77]
	s_cbranch_execz .LBB2_630
; %bb.629:                              ;   in Loop: Header=BB2_350 Depth=3
	v_ffbh_u32_e32 v38, v37
	v_min_u32_e32 v38, 32, v38
	v_mov_b32_e32 v28, v3
	v_subrev_u32_e32 v39, 29, v38
	v_bfe_u32 v24, v27, 2, 5
	v_lshlrev_b64 v[27:28], v39, v[27:28]
	v_sub_u32_e32 v28, 30, v38
	v_cmp_eq_u32_e32 vcc, 0, v24
	v_cndmask_b32_e32 v24, v24, v28, vcc
	v_lshlrev_b32_e32 v28, 16, v19
	v_and_b32_e32 v27, 3, v27
	v_and_b32_e32 v28, 0x80000000, v28
	v_cndmask_b32_e32 v27, v37, v27, vcc
	v_lshl_add_u32 v24, v24, 23, v28
	v_lshl_or_b32 v24, v27, 21, v24
	v_add_u32_e32 v24, 0x38000000, v24
                                        ; implicit-def: $vgpr37
.LBB2_630:                              ;   in Loop: Header=BB2_350 Depth=3
	s_andn2_saveexec_b64 s[76:77], s[76:77]
; %bb.631:                              ;   in Loop: Header=BB2_350 Depth=3
	v_cmp_lt_i16_e32 vcc, -1, v19
	v_cndmask_b32_e32 v24, v8, v54, vcc
	v_cmp_eq_u32_e32 vcc, 0, v37
	v_cndmask_b32_e32 v24, v55, v24, vcc
; %bb.632:                              ;   in Loop: Header=BB2_350 Depth=3
	s_or_b64 exec, exec, s[76:77]
.LBB2_633:                              ;   in Loop: Header=BB2_350 Depth=3
	s_or_b64 exec, exec, s[74:75]
.LBB2_634:                              ;   in Loop: Header=BB2_350 Depth=3
	s_or_b64 exec, exec, s[18:19]
	v_lshrrev_b16_e32 v27, 8, v0
	v_cmp_ne_u16_e32 vcc, 0, v27
	s_and_saveexec_b64 s[18:19], vcc
	s_cbranch_execz .LBB2_642
; %bb.635:                              ;   in Loop: Header=BB2_350 Depth=3
	v_cmp_ne_u16_e32 vcc, s48, v27
	v_bfrev_b32_e32 v20, 1
	s_and_saveexec_b64 s[74:75], vcc
	s_cbranch_execz .LBB2_641
; %bb.636:                              ;   in Loop: Header=BB2_350 Depth=3
	v_and_b32_e32 v20, 0x7c, v27
	v_and_b32_e32 v37, 3, v27
	v_cmp_ne_u32_e32 vcc, s39, v20
                                        ; implicit-def: $vgpr20
	s_and_saveexec_b64 s[76:77], vcc
	s_xor_b64 s[76:77], exec, s[76:77]
	s_cbranch_execz .LBB2_638
; %bb.637:                              ;   in Loop: Header=BB2_350 Depth=3
	v_ffbh_u32_e32 v38, v37
	v_min_u32_e32 v38, 32, v38
	v_mov_b32_e32 v28, v3
	v_subrev_u32_e32 v39, 29, v38
	v_bfe_u32 v20, v27, 2, 5
	v_lshlrev_b64 v[27:28], v39, v[27:28]
	v_sub_u32_e32 v28, 30, v38
	v_cmp_eq_u32_e32 vcc, 0, v20
	v_lshlrev_b32_e32 v0, 16, v0
	v_and_b32_e32 v27, 3, v27
	v_cndmask_b32_e32 v20, v20, v28, vcc
	v_and_b32_e32 v0, 0x80000000, v0
	v_cndmask_b32_e32 v27, v37, v27, vcc
	v_lshl_add_u32 v0, v20, 23, v0
	v_lshl_or_b32 v0, v27, 21, v0
	v_add_u32_e32 v20, 0x38000000, v0
                                        ; implicit-def: $vgpr37
                                        ; implicit-def: $vgpr0
.LBB2_638:                              ;   in Loop: Header=BB2_350 Depth=3
	s_andn2_saveexec_b64 s[76:77], s[76:77]
; %bb.639:                              ;   in Loop: Header=BB2_350 Depth=3
	v_cmp_lt_i16_e32 vcc, -1, v0
	v_cndmask_b32_e32 v0, v8, v54, vcc
	v_cmp_eq_u32_e32 vcc, 0, v37
	v_cndmask_b32_e32 v20, v55, v0, vcc
; %bb.640:                              ;   in Loop: Header=BB2_350 Depth=3
	s_or_b64 exec, exec, s[76:77]
.LBB2_641:                              ;   in Loop: Header=BB2_350 Depth=3
	s_or_b64 exec, exec, s[74:75]
.LBB2_642:                              ;   in Loop: Header=BB2_350 Depth=3
	s_or_b64 exec, exec, s[18:19]
	v_add_f32_e32 v20, v24, v20
	v_and_b32_e32 v37, 0x7f800000, v20
	v_mov_b32_e32 v38, v3
	v_cmp_ne_u64_e32 vcc, s[56:57], v[37:38]
	v_and_b32_e32 v27, 0x7fffff, v20
	v_mov_b32_e32 v28, v3
                                        ; implicit-def: $vgpr56
	s_and_saveexec_b64 s[18:19], vcc
	s_xor_b64 s[74:75], exec, s[18:19]
	s_cbranch_execz .LBB2_656
; %bb.643:                              ;   in Loop: Header=BB2_350 Depth=3
	v_and_b32_e32 v37, 0x7fffffff, v20
	v_mov_b32_e32 v38, v3
	v_cmp_gt_u64_e32 vcc, s[58:59], v[37:38]
	v_and_b32_sdwa v0, v20, s48 dst_sel:DWORD dst_unused:UNUSED_PAD src0_sel:BYTE_3 src1_sel:DWORD
                                        ; implicit-def: $vgpr56
	s_and_saveexec_b64 s[18:19], vcc
	s_xor_b64 s[76:77], exec, s[18:19]
	s_cbranch_execz .LBB2_653
; %bb.644:                              ;   in Loop: Header=BB2_350 Depth=3
	v_mov_b32_e32 v56, 0
	v_cmp_ne_u32_e32 vcc, 0, v20
	s_and_saveexec_b64 s[78:79], vcc
	s_cbranch_execz .LBB2_652
; %bb.645:                              ;   in Loop: Header=BB2_350 Depth=3
	v_bfe_u32 v20, v20, 23, 8
	v_cmp_gt_u32_e64 s[18:19], s49, v20
	v_sub_u32_e32 v24, 0x71, v20
	v_cmp_eq_u32_e32 vcc, 0, v20
	v_cndmask_b32_e64 v24, 0, v24, s[18:19]
	v_or_b32_e32 v37, 0x800000, v27
	v_cndmask_b32_e32 v24, v24, v12, vcc
	v_cndmask_b32_e32 v27, v37, v27, vcc
	v_add_u32_e32 v37, 21, v24
	v_lshlrev_b64 v[37:38], v37, -1
	v_add_u32_e32 v39, 20, v24
	v_bfi_b32 v37, v37, 0, v27
	v_lshlrev_b64 v[42:43], v39, 1
	v_lshrrev_b64 v[27:28], v24, v[27:28]
	v_bfi_b32 v38, v38, 0, 0
	v_cmp_eq_u64_e64 s[18:19], v[37:38], v[42:43]
	v_mov_b32_e32 v43, v28
	v_mov_b32_e32 v42, v27
	s_and_saveexec_b64 s[88:89], s[18:19]
; %bb.646:                              ;   in Loop: Header=BB2_350 Depth=3
	v_bfe_u32 v28, v27, 21, 1
	v_add_co_u32_e64 v28, s[18:19], v27, v28
	v_add_co_u32_e64 v42, s[18:19], -1, v28
; %bb.647:                              ;   in Loop: Header=BB2_350 Depth=3
	s_or_b64 exec, exec, s[88:89]
	v_add_u32_e32 v20, 0xffffff81, v20
	v_cndmask_b32_e32 v20, v20, v48, vcc
	v_lshrrev_b32_e32 v28, 23, v27
	v_add3_u32 v37, v24, v20, v28
	v_add_u32_e32 v24, 14, v37
	v_and_b32_e32 v20, 0x1fffff, v42
	v_add_u32_e32 v27, v20, v27
	v_mov_b32_e32 v28, v3
	v_cmp_ne_u32_e32 vcc, 0, v24
                                        ; implicit-def: $vgpr20
	s_and_saveexec_b64 s[18:19], vcc
	s_xor_b64 s[18:19], exec, s[18:19]
; %bb.648:                              ;   in Loop: Header=BB2_350 Depth=3
	v_cmp_lt_u64_e32 vcc, s[60:61], v[27:28]
	v_add_u32_e32 v20, 15, v37
	v_cndmask_b32_e32 v20, v24, v20, vcc
	v_cndmask_b32_e64 v24, 0, 1, vcc
	v_lshrrev_b64 v[27:28], v24, v[27:28]
; %bb.649:                              ;   in Loop: Header=BB2_350 Depth=3
	s_andn2_saveexec_b64 s[18:19], s[18:19]
; %bb.650:                              ;   in Loop: Header=BB2_350 Depth=3
	v_bfe_u32 v20, v27, 23, 1
; %bb.651:                              ;   in Loop: Header=BB2_350 Depth=3
	s_or_b64 exec, exec, s[18:19]
	v_lshrrev_b64 v[27:28], 21, v[27:28]
	v_cmp_gt_i32_e32 vcc, 32, v20
	v_cndmask_b32_e32 v28, 0, v28, vcc
	v_cndmask_b32_e32 v27, 3, v27, vcc
	v_cmp_eq_u32_e32 vcc, 0, v20
	v_min_i32_e32 v20, 31, v20
	v_cmp_eq_u64_e64 s[18:19], 0, v[27:28]
	v_lshlrev_b32_e32 v20, 2, v20
	v_and_b32_e32 v20, 0xfc, v20
	v_and_or_b32 v20, v27, 3, v20
	s_and_b64 s[18:19], vcc, s[18:19]
	v_cndmask_b32_e64 v20, v20, 0, s[18:19]
	v_or_b32_e32 v56, v20, v0
.LBB2_652:                              ;   in Loop: Header=BB2_350 Depth=3
	s_or_b64 exec, exec, s[78:79]
                                        ; implicit-def: $vgpr0
.LBB2_653:                              ;   in Loop: Header=BB2_350 Depth=3
	s_andn2_saveexec_b64 s[18:19], s[76:77]
; %bb.654:                              ;   in Loop: Header=BB2_350 Depth=3
	v_or_b32_e32 v56, 0x7b, v0
; %bb.655:                              ;   in Loop: Header=BB2_350 Depth=3
	s_or_b64 exec, exec, s[18:19]
                                        ; implicit-def: $vgpr20
                                        ; implicit-def: $vgpr27_vgpr28
.LBB2_656:                              ;   in Loop: Header=BB2_350 Depth=3
	s_andn2_saveexec_b64 s[18:19], s[74:75]
	s_cbranch_execz .LBB2_662
; %bb.657:                              ;   in Loop: Header=BB2_350 Depth=3
	v_cmp_ne_u64_e32 vcc, 0, v[27:28]
                                        ; implicit-def: $vgpr56
	s_and_saveexec_b64 s[74:75], vcc
	s_xor_b64 s[74:75], exec, s[74:75]
; %bb.658:                              ;   in Loop: Header=BB2_350 Depth=3
	v_or_b32_sdwa v56, v20, s50 dst_sel:DWORD dst_unused:UNUSED_PAD src0_sel:BYTE_3 src1_sel:DWORD
                                        ; implicit-def: $vgpr20
; %bb.659:                              ;   in Loop: Header=BB2_350 Depth=3
	s_andn2_saveexec_b64 s[74:75], s[74:75]
; %bb.660:                              ;   in Loop: Header=BB2_350 Depth=3
	v_cmp_lt_i32_e32 vcc, -1, v20
	v_cndmask_b32_e32 v56, v49, v11, vcc
; %bb.661:                              ;   in Loop: Header=BB2_350 Depth=3
	s_or_b64 exec, exec, s[74:75]
.LBB2_662:                              ;   in Loop: Header=BB2_350 Depth=3
	s_or_b64 exec, exec, s[18:19]
	v_lshrrev_b32_e32 v0, 16, v19
	v_cmp_ne_u16_sdwa s[74:75], v0, v3 src0_sel:BYTE_0 src1_sel:DWORD
	v_mov_b32_e32 v24, 0
	v_mov_b32_e32 v20, 0
	s_and_saveexec_b64 s[18:19], s[74:75]
	s_cbranch_execz .LBB2_670
; %bb.663:                              ;   in Loop: Header=BB2_350 Depth=3
	v_cmp_ne_u16_sdwa s[76:77], v0, s48 src0_sel:BYTE_0 src1_sel:DWORD
	v_bfrev_b32_e32 v20, 1
	s_and_saveexec_b64 s[74:75], s[76:77]
	s_cbranch_execz .LBB2_669
; %bb.664:                              ;   in Loop: Header=BB2_350 Depth=3
	v_and_b32_e32 v20, 0x7c0000, v19
	v_bfe_u32 v27, v19, 16, 2
	v_cmp_ne_u32_e32 vcc, s51, v20
                                        ; implicit-def: $vgpr20
	s_and_saveexec_b64 s[76:77], vcc
	s_xor_b64 s[76:77], exec, s[76:77]
	s_cbranch_execz .LBB2_666
; %bb.665:                              ;   in Loop: Header=BB2_350 Depth=3
	v_ffbh_u32_e32 v28, v27
	v_min_u32_e32 v28, 32, v28
	v_subrev_u32_e32 v37, 29, v28
	v_lshlrev_b64 v[37:38], v37, v[0:1]
	v_bfe_u32 v20, v19, 18, 5
	v_sub_u32_e32 v0, 30, v28
	v_and_b32_e32 v28, 3, v37
	v_cmp_eq_u32_e32 vcc, 0, v20
	v_cndmask_b32_e32 v0, v20, v0, vcc
	v_cndmask_b32_e32 v20, v27, v28, vcc
	v_lshlrev_b32_e32 v27, 8, v19
	v_and_b32_e32 v27, 0x80000000, v27
	v_lshl_add_u32 v0, v0, 23, v27
	v_lshl_or_b32 v0, v20, 21, v0
	v_add_u32_e32 v20, 0x38000000, v0
                                        ; implicit-def: $vgpr27
                                        ; implicit-def: $vgpr0
.LBB2_666:                              ;   in Loop: Header=BB2_350 Depth=3
	s_andn2_saveexec_b64 s[76:77], s[76:77]
; %bb.667:                              ;   in Loop: Header=BB2_350 Depth=3
	v_cmp_gt_i16_sdwa vcc, sext(v0), v7 src0_sel:BYTE_0 src1_sel:DWORD
	v_cndmask_b32_e32 v0, v8, v54, vcc
	v_cmp_eq_u32_e32 vcc, 0, v27
	v_cndmask_b32_e32 v20, v55, v0, vcc
; %bb.668:                              ;   in Loop: Header=BB2_350 Depth=3
	s_or_b64 exec, exec, s[76:77]
.LBB2_669:                              ;   in Loop: Header=BB2_350 Depth=3
	s_or_b64 exec, exec, s[74:75]
.LBB2_670:                              ;   in Loop: Header=BB2_350 Depth=3
	s_or_b64 exec, exec, s[18:19]
	v_and_b32_sdwa v27, v2, s37 dst_sel:DWORD dst_unused:UNUSED_PAD src0_sel:WORD_1 src1_sel:DWORD
	v_lshrrev_b32_e32 v0, 16, v2
	v_cmp_ne_u16_e32 vcc, 0, v27
	s_and_saveexec_b64 s[18:19], vcc
	s_cbranch_execz .LBB2_678
; %bb.671:                              ;   in Loop: Header=BB2_350 Depth=3
	v_cmp_ne_u16_e32 vcc, s48, v27
	v_bfrev_b32_e32 v24, 1
	s_and_saveexec_b64 s[74:75], vcc
	s_cbranch_execz .LBB2_677
; %bb.672:                              ;   in Loop: Header=BB2_350 Depth=3
	v_and_b32_e32 v24, 0x7c0000, v2
	v_bfe_u32 v27, v2, 16, 2
	v_cmp_ne_u32_e32 vcc, s51, v24
                                        ; implicit-def: $vgpr24
	s_and_saveexec_b64 s[76:77], vcc
	s_xor_b64 s[76:77], exec, s[76:77]
	s_cbranch_execz .LBB2_674
; %bb.673:                              ;   in Loop: Header=BB2_350 Depth=3
	v_ffbh_u32_e32 v28, v27
	v_min_u32_e32 v28, 32, v28
	v_lshrrev_b32_e32 v0, 16, v2
	v_subrev_u32_e32 v37, 29, v28
	v_lshlrev_b64 v[37:38], v37, v[0:1]
	v_bfe_u32 v24, v2, 18, 5
	v_sub_u32_e32 v0, 30, v28
	v_and_b32_e32 v28, 3, v37
	v_cmp_eq_u32_e32 vcc, 0, v24
	v_cndmask_b32_e32 v0, v24, v0, vcc
	v_cndmask_b32_e32 v24, v27, v28, vcc
	v_lshlrev_b32_e32 v27, 8, v2
	v_and_b32_e32 v27, 0x80000000, v27
	v_lshl_add_u32 v0, v0, 23, v27
	v_lshl_or_b32 v0, v24, 21, v0
	v_add_u32_e32 v24, 0x38000000, v0
                                        ; implicit-def: $vgpr27
                                        ; implicit-def: $vgpr0
.LBB2_674:                              ;   in Loop: Header=BB2_350 Depth=3
	s_andn2_saveexec_b64 s[76:77], s[76:77]
; %bb.675:                              ;   in Loop: Header=BB2_350 Depth=3
	v_cmp_gt_i16_sdwa vcc, sext(v0), v7 src0_sel:BYTE_0 src1_sel:DWORD
	v_cndmask_b32_e32 v0, v8, v54, vcc
	v_cmp_eq_u32_e32 vcc, 0, v27
	v_cndmask_b32_e32 v24, v55, v0, vcc
; %bb.676:                              ;   in Loop: Header=BB2_350 Depth=3
	s_or_b64 exec, exec, s[76:77]
.LBB2_677:                              ;   in Loop: Header=BB2_350 Depth=3
	s_or_b64 exec, exec, s[74:75]
.LBB2_678:                              ;   in Loop: Header=BB2_350 Depth=3
	s_or_b64 exec, exec, s[18:19]
	v_add_f32_e32 v20, v20, v24
	v_and_b32_e32 v37, 0x7f800000, v20
	v_mov_b32_e32 v38, v3
	v_cmp_ne_u64_e32 vcc, s[56:57], v[37:38]
	v_and_b32_e32 v27, 0x7fffff, v20
	v_mov_b32_e32 v28, v3
                                        ; implicit-def: $vgpr42
	s_and_saveexec_b64 s[18:19], vcc
	s_xor_b64 s[74:75], exec, s[18:19]
	s_cbranch_execz .LBB2_692
; %bb.679:                              ;   in Loop: Header=BB2_350 Depth=3
	v_and_b32_e32 v37, 0x7fffffff, v20
	v_mov_b32_e32 v38, v3
	v_cmp_gt_u64_e32 vcc, s[58:59], v[37:38]
	v_and_b32_sdwa v0, v20, s48 dst_sel:DWORD dst_unused:UNUSED_PAD src0_sel:BYTE_3 src1_sel:DWORD
                                        ; implicit-def: $vgpr42
	s_and_saveexec_b64 s[18:19], vcc
	s_xor_b64 s[76:77], exec, s[18:19]
	s_cbranch_execz .LBB2_689
; %bb.680:                              ;   in Loop: Header=BB2_350 Depth=3
	v_mov_b32_e32 v42, 0
	v_cmp_ne_u32_e32 vcc, 0, v20
	s_and_saveexec_b64 s[78:79], vcc
	s_cbranch_execz .LBB2_688
; %bb.681:                              ;   in Loop: Header=BB2_350 Depth=3
	v_bfe_u32 v20, v20, 23, 8
	v_cmp_gt_u32_e64 s[18:19], s49, v20
	v_sub_u32_e32 v24, 0x71, v20
	v_cmp_eq_u32_e32 vcc, 0, v20
	v_cndmask_b32_e64 v24, 0, v24, s[18:19]
	v_or_b32_e32 v37, 0x800000, v27
	v_cndmask_b32_e32 v24, v24, v12, vcc
	v_cndmask_b32_e32 v27, v37, v27, vcc
	v_add_u32_e32 v37, 21, v24
	v_lshlrev_b64 v[37:38], v37, -1
	v_add_u32_e32 v39, 20, v24
	v_bfi_b32 v37, v37, 0, v27
	v_lshlrev_b64 v[42:43], v39, 1
	v_lshrrev_b64 v[27:28], v24, v[27:28]
	v_bfi_b32 v38, v38, 0, 0
	v_cmp_eq_u64_e64 s[18:19], v[37:38], v[42:43]
	v_mov_b32_e32 v43, v28
	v_mov_b32_e32 v42, v27
	s_and_saveexec_b64 s[88:89], s[18:19]
; %bb.682:                              ;   in Loop: Header=BB2_350 Depth=3
	v_bfe_u32 v28, v27, 21, 1
	v_add_co_u32_e64 v28, s[18:19], v27, v28
	v_add_co_u32_e64 v42, s[18:19], -1, v28
; %bb.683:                              ;   in Loop: Header=BB2_350 Depth=3
	s_or_b64 exec, exec, s[88:89]
	v_add_u32_e32 v20, 0xffffff81, v20
	v_cndmask_b32_e32 v20, v20, v48, vcc
	v_lshrrev_b32_e32 v28, 23, v27
	v_add3_u32 v37, v24, v20, v28
	v_add_u32_e32 v24, 14, v37
	v_and_b32_e32 v20, 0x1fffff, v42
	v_add_u32_e32 v27, v20, v27
	v_mov_b32_e32 v28, v3
	v_cmp_ne_u32_e32 vcc, 0, v24
                                        ; implicit-def: $vgpr20
	s_and_saveexec_b64 s[18:19], vcc
	s_xor_b64 s[18:19], exec, s[18:19]
; %bb.684:                              ;   in Loop: Header=BB2_350 Depth=3
	v_cmp_lt_u64_e32 vcc, s[60:61], v[27:28]
	v_add_u32_e32 v20, 15, v37
	v_cndmask_b32_e32 v20, v24, v20, vcc
	v_cndmask_b32_e64 v24, 0, 1, vcc
	v_lshrrev_b64 v[27:28], v24, v[27:28]
; %bb.685:                              ;   in Loop: Header=BB2_350 Depth=3
	s_andn2_saveexec_b64 s[18:19], s[18:19]
; %bb.686:                              ;   in Loop: Header=BB2_350 Depth=3
	v_bfe_u32 v20, v27, 23, 1
; %bb.687:                              ;   in Loop: Header=BB2_350 Depth=3
	s_or_b64 exec, exec, s[18:19]
	v_lshrrev_b64 v[27:28], 21, v[27:28]
	v_cmp_gt_i32_e32 vcc, 32, v20
	v_cndmask_b32_e32 v28, 0, v28, vcc
	v_cndmask_b32_e32 v27, 3, v27, vcc
	v_cmp_eq_u32_e32 vcc, 0, v20
	v_min_i32_e32 v20, 31, v20
	v_cmp_eq_u64_e64 s[18:19], 0, v[27:28]
	v_lshlrev_b32_e32 v20, 2, v20
	v_and_b32_e32 v20, 0xfc, v20
	v_and_or_b32 v20, v27, 3, v20
	s_and_b64 s[18:19], vcc, s[18:19]
	v_cndmask_b32_e64 v20, v20, 0, s[18:19]
	v_or_b32_e32 v42, v20, v0
.LBB2_688:                              ;   in Loop: Header=BB2_350 Depth=3
	s_or_b64 exec, exec, s[78:79]
                                        ; implicit-def: $vgpr0
.LBB2_689:                              ;   in Loop: Header=BB2_350 Depth=3
	s_andn2_saveexec_b64 s[18:19], s[76:77]
; %bb.690:                              ;   in Loop: Header=BB2_350 Depth=3
	v_or_b32_e32 v42, 0x7b, v0
; %bb.691:                              ;   in Loop: Header=BB2_350 Depth=3
	s_or_b64 exec, exec, s[18:19]
                                        ; implicit-def: $vgpr20
                                        ; implicit-def: $vgpr27_vgpr28
.LBB2_692:                              ;   in Loop: Header=BB2_350 Depth=3
	s_andn2_saveexec_b64 s[18:19], s[74:75]
	s_cbranch_execz .LBB2_698
; %bb.693:                              ;   in Loop: Header=BB2_350 Depth=3
	v_cmp_ne_u64_e32 vcc, 0, v[27:28]
                                        ; implicit-def: $vgpr42
	s_and_saveexec_b64 s[74:75], vcc
	s_xor_b64 s[74:75], exec, s[74:75]
; %bb.694:                              ;   in Loop: Header=BB2_350 Depth=3
	v_or_b32_sdwa v42, v20, s50 dst_sel:DWORD dst_unused:UNUSED_PAD src0_sel:BYTE_3 src1_sel:DWORD
                                        ; implicit-def: $vgpr20
; %bb.695:                              ;   in Loop: Header=BB2_350 Depth=3
	s_andn2_saveexec_b64 s[74:75], s[74:75]
; %bb.696:                              ;   in Loop: Header=BB2_350 Depth=3
	v_cmp_lt_i32_e32 vcc, -1, v20
	v_cndmask_b32_e32 v42, v49, v11, vcc
; %bb.697:                              ;   in Loop: Header=BB2_350 Depth=3
	s_or_b64 exec, exec, s[74:75]
.LBB2_698:                              ;   in Loop: Header=BB2_350 Depth=3
	s_or_b64 exec, exec, s[18:19]
	v_cmp_lt_u32_e32 vcc, s47, v19
	v_mov_b32_e32 v20, 0
	v_mov_b32_e32 v24, 0
	s_and_saveexec_b64 s[18:19], vcc
	s_cbranch_execz .LBB2_706
; %bb.699:                              ;   in Loop: Header=BB2_350 Depth=3
	v_lshrrev_b32_e32 v0, 24, v19
	v_cmp_ne_u32_e32 vcc, s48, v0
	v_bfrev_b32_e32 v24, 1
	s_and_saveexec_b64 s[74:75], vcc
	s_cbranch_execz .LBB2_705
; %bb.700:                              ;   in Loop: Header=BB2_350 Depth=3
	v_and_b32_e32 v24, 0x7c000000, v19
	v_bfe_u32 v27, v19, 24, 2
	v_cmp_ne_u32_e32 vcc, s52, v24
                                        ; implicit-def: $vgpr24
	s_and_saveexec_b64 s[76:77], vcc
	s_xor_b64 s[76:77], exec, s[76:77]
	s_cbranch_execz .LBB2_702
; %bb.701:                              ;   in Loop: Header=BB2_350 Depth=3
	v_ffbh_u32_e32 v28, v27
	v_min_u32_e32 v28, 32, v28
	v_subrev_u32_e32 v37, 29, v28
	v_bfe_u32 v24, v19, 26, 5
	v_lshlrev_b64 v[37:38], v37, v[0:1]
	v_sub_u32_e32 v0, 30, v28
	v_cmp_eq_u32_e32 vcc, 0, v24
	v_and_b32_e32 v28, 3, v37
	v_cndmask_b32_e32 v0, v24, v0, vcc
	v_and_b32_e32 v19, 0x80000000, v19
	v_cndmask_b32_e32 v24, v27, v28, vcc
	v_lshl_add_u32 v0, v0, 23, v19
	v_lshl_or_b32 v0, v24, 21, v0
	v_add_u32_e32 v24, 0x38000000, v0
                                        ; implicit-def: $vgpr27
.LBB2_702:                              ;   in Loop: Header=BB2_350 Depth=3
	s_andn2_saveexec_b64 s[76:77], s[76:77]
; %bb.703:                              ;   in Loop: Header=BB2_350 Depth=3
	v_cmp_lt_i32_e32 vcc, -1, v19
	v_cndmask_b32_e32 v0, v8, v54, vcc
	v_cmp_eq_u32_e32 vcc, 0, v27
	v_cndmask_b32_e32 v24, v55, v0, vcc
; %bb.704:                              ;   in Loop: Header=BB2_350 Depth=3
	s_or_b64 exec, exec, s[76:77]
.LBB2_705:                              ;   in Loop: Header=BB2_350 Depth=3
	s_or_b64 exec, exec, s[74:75]
.LBB2_706:                              ;   in Loop: Header=BB2_350 Depth=3
	s_or_b64 exec, exec, s[18:19]
	v_cmp_lt_u32_e32 vcc, s47, v2
	s_and_saveexec_b64 s[18:19], vcc
	s_cbranch_execz .LBB2_714
; %bb.707:                              ;   in Loop: Header=BB2_350 Depth=3
	v_lshrrev_b32_e32 v0, 24, v2
	v_cmp_ne_u32_e32 vcc, s48, v0
	v_bfrev_b32_e32 v20, 1
	s_and_saveexec_b64 s[74:75], vcc
	s_cbranch_execz .LBB2_713
; %bb.708:                              ;   in Loop: Header=BB2_350 Depth=3
	v_and_b32_e32 v20, 0x7c000000, v2
	v_bfe_u32 v19, v2, 24, 2
	v_cmp_ne_u32_e32 vcc, s52, v20
                                        ; implicit-def: $vgpr20
	s_and_saveexec_b64 s[76:77], vcc
	s_xor_b64 s[76:77], exec, s[76:77]
	s_cbranch_execz .LBB2_710
; %bb.709:                              ;   in Loop: Header=BB2_350 Depth=3
	v_ffbh_u32_e32 v27, v19
	v_min_u32_e32 v37, 32, v27
	v_subrev_u32_e32 v27, 29, v37
	v_bfe_u32 v20, v2, 26, 5
	v_lshlrev_b64 v[27:28], v27, v[0:1]
	v_sub_u32_e32 v0, 30, v37
	v_cmp_eq_u32_e32 vcc, 0, v20
	v_and_b32_e32 v27, 3, v27
	v_cndmask_b32_e32 v0, v20, v0, vcc
	v_and_b32_e32 v2, 0x80000000, v2
	v_cndmask_b32_e32 v19, v19, v27, vcc
	v_lshl_add_u32 v0, v0, 23, v2
	v_lshl_or_b32 v0, v19, 21, v0
	v_add_u32_e32 v20, 0x38000000, v0
                                        ; implicit-def: $vgpr19
.LBB2_710:                              ;   in Loop: Header=BB2_350 Depth=3
	s_andn2_saveexec_b64 s[76:77], s[76:77]
; %bb.711:                              ;   in Loop: Header=BB2_350 Depth=3
	v_cmp_lt_i32_e32 vcc, -1, v2
	v_cndmask_b32_e32 v0, v8, v54, vcc
	v_cmp_eq_u32_e32 vcc, 0, v19
	v_cndmask_b32_e32 v20, v55, v0, vcc
; %bb.712:                              ;   in Loop: Header=BB2_350 Depth=3
	s_or_b64 exec, exec, s[76:77]
.LBB2_713:                              ;   in Loop: Header=BB2_350 Depth=3
	s_or_b64 exec, exec, s[74:75]
.LBB2_714:                              ;   in Loop: Header=BB2_350 Depth=3
	s_or_b64 exec, exec, s[18:19]
	v_add_f32_e32 v19, v24, v20
	v_and_b32_e32 v27, 0x7f800000, v19
	v_mov_b32_e32 v28, v3
	v_cmp_ne_u64_e32 vcc, s[56:57], v[27:28]
	v_and_b32_e32 v2, 0x7fffff, v19
                                        ; implicit-def: $vgpr24
	s_and_saveexec_b64 s[18:19], vcc
	s_xor_b64 s[74:75], exec, s[18:19]
	s_cbranch_execz .LBB2_728
; %bb.715:                              ;   in Loop: Header=BB2_350 Depth=3
	v_and_b32_e32 v27, 0x7fffffff, v19
	v_mov_b32_e32 v28, v3
	v_cmp_gt_u64_e32 vcc, s[58:59], v[27:28]
	v_and_b32_sdwa v0, v19, s48 dst_sel:DWORD dst_unused:UNUSED_PAD src0_sel:BYTE_3 src1_sel:DWORD
                                        ; implicit-def: $vgpr24
	s_and_saveexec_b64 s[18:19], vcc
	s_xor_b64 s[76:77], exec, s[18:19]
	s_cbranch_execz .LBB2_725
; %bb.716:                              ;   in Loop: Header=BB2_350 Depth=3
	v_mov_b32_e32 v24, 0
	v_cmp_ne_u32_e32 vcc, 0, v19
	s_and_saveexec_b64 s[78:79], vcc
	s_cbranch_execz .LBB2_724
; %bb.717:                              ;   in Loop: Header=BB2_350 Depth=3
	v_bfe_u32 v24, v19, 23, 8
	v_cmp_gt_u32_e64 s[18:19], s49, v24
	v_sub_u32_e32 v19, 0x71, v24
	v_cmp_eq_u32_e32 vcc, 0, v24
	v_cndmask_b32_e64 v19, 0, v19, s[18:19]
	v_cndmask_b32_e32 v37, v19, v12, vcc
	v_or_b32_e32 v20, 0x800000, v2
	v_add_u32_e32 v19, 21, v37
	v_cndmask_b32_e32 v2, v20, v2, vcc
	v_lshlrev_b64 v[19:20], v19, -1
	v_add_u32_e32 v27, 20, v37
	v_lshlrev_b64 v[27:28], v27, 1
	v_bfi_b32 v20, v20, 0, 0
	v_bfi_b32 v19, v19, 0, v2
	v_cmp_eq_u64_e64 s[18:19], v[19:20], v[27:28]
	v_lshrrev_b64 v[19:20], v37, v[2:3]
	v_mov_b32_e32 v28, v20
	v_mov_b32_e32 v27, v19
	s_and_saveexec_b64 s[88:89], s[18:19]
; %bb.718:                              ;   in Loop: Header=BB2_350 Depth=3
	v_bfe_u32 v2, v19, 21, 1
	v_add_co_u32_e64 v2, s[18:19], v19, v2
	v_add_co_u32_e64 v27, s[18:19], -1, v2
; %bb.719:                              ;   in Loop: Header=BB2_350 Depth=3
	s_or_b64 exec, exec, s[88:89]
	v_add_u32_e32 v2, 0xffffff81, v24
	v_cndmask_b32_e32 v2, v2, v48, vcc
	v_lshrrev_b32_e32 v20, 23, v19
	v_add3_u32 v37, v37, v2, v20
	v_add_u32_e32 v28, 14, v37
	v_and_b32_e32 v2, 0x1fffff, v27
	v_add_u32_e32 v2, v2, v19
	v_cmp_ne_u32_e32 vcc, 0, v28
                                        ; implicit-def: $vgpr19_vgpr20
                                        ; implicit-def: $vgpr24
	s_and_saveexec_b64 s[18:19], vcc
	s_xor_b64 s[18:19], exec, s[18:19]
; %bb.720:                              ;   in Loop: Header=BB2_350 Depth=3
	v_cmp_lt_u64_e32 vcc, s[60:61], v[2:3]
	v_add_u32_e32 v19, 15, v37
	v_cndmask_b32_e32 v24, v28, v19, vcc
	v_cndmask_b32_e64 v19, 0, 1, vcc
	v_lshrrev_b64 v[19:20], v19, v[2:3]
; %bb.721:                              ;   in Loop: Header=BB2_350 Depth=3
	s_andn2_saveexec_b64 s[18:19], s[18:19]
; %bb.722:                              ;   in Loop: Header=BB2_350 Depth=3
	v_mov_b32_e32 v20, v3
	v_bfe_u32 v24, v2, 23, 1
	v_mov_b32_e32 v19, v2
; %bb.723:                              ;   in Loop: Header=BB2_350 Depth=3
	s_or_b64 exec, exec, s[18:19]
	v_lshrrev_b64 v[19:20], 21, v[19:20]
	v_cmp_gt_i32_e32 vcc, 32, v24
	v_cndmask_b32_e32 v20, 0, v20, vcc
	v_cndmask_b32_e32 v19, 3, v19, vcc
	v_min_i32_e32 v2, 31, v24
	v_cmp_eq_u64_e64 s[18:19], 0, v[19:20]
	v_lshlrev_b32_e32 v2, 2, v2
	v_cmp_eq_u32_e32 vcc, 0, v24
	v_and_b32_e32 v2, 0xfc, v2
	v_and_or_b32 v2, v19, 3, v2
	s_and_b64 s[18:19], vcc, s[18:19]
	v_cndmask_b32_e64 v2, v2, 0, s[18:19]
	v_or_b32_e32 v24, v2, v0
.LBB2_724:                              ;   in Loop: Header=BB2_350 Depth=3
	s_or_b64 exec, exec, s[78:79]
                                        ; implicit-def: $vgpr0
.LBB2_725:                              ;   in Loop: Header=BB2_350 Depth=3
	s_andn2_saveexec_b64 s[18:19], s[76:77]
; %bb.726:                              ;   in Loop: Header=BB2_350 Depth=3
	v_or_b32_e32 v24, 0x7b, v0
; %bb.727:                              ;   in Loop: Header=BB2_350 Depth=3
	s_or_b64 exec, exec, s[18:19]
                                        ; implicit-def: $vgpr19
.LBB2_728:                              ;   in Loop: Header=BB2_350 Depth=3
	s_andn2_saveexec_b64 s[18:19], s[74:75]
	s_cbranch_execz .LBB2_734
; %bb.729:                              ;   in Loop: Header=BB2_350 Depth=3
	v_cmp_ne_u64_e32 vcc, 0, v[2:3]
                                        ; implicit-def: $vgpr24
	s_and_saveexec_b64 s[74:75], vcc
	s_xor_b64 s[74:75], exec, s[74:75]
; %bb.730:                              ;   in Loop: Header=BB2_350 Depth=3
	v_or_b32_sdwa v24, v19, s50 dst_sel:DWORD dst_unused:UNUSED_PAD src0_sel:BYTE_3 src1_sel:DWORD
                                        ; implicit-def: $vgpr19
; %bb.731:                              ;   in Loop: Header=BB2_350 Depth=3
	s_andn2_saveexec_b64 s[74:75], s[74:75]
; %bb.732:                              ;   in Loop: Header=BB2_350 Depth=3
	v_cmp_lt_i32_e32 vcc, -1, v19
	v_cndmask_b32_e32 v24, v49, v11, vcc
; %bb.733:                              ;   in Loop: Header=BB2_350 Depth=3
	s_or_b64 exec, exec, s[74:75]
.LBB2_734:                              ;   in Loop: Header=BB2_350 Depth=3
	s_or_b64 exec, exec, s[18:19]
	v_cmp_ne_u16_sdwa s[74:75], v21, v3 src0_sel:BYTE_0 src1_sel:DWORD
	v_mov_b32_e32 v20, 0
	v_mov_b32_e32 v19, 0
	s_and_saveexec_b64 s[18:19], s[74:75]
	s_cbranch_execz .LBB2_742
; %bb.735:                              ;   in Loop: Header=BB2_350 Depth=3
	v_cmp_ne_u16_sdwa s[76:77], sext(v21), s38 src0_sel:BYTE_0 src1_sel:DWORD
	v_bfrev_b32_e32 v19, 1
	s_and_saveexec_b64 s[74:75], s[76:77]
	s_cbranch_execz .LBB2_741
; %bb.736:                              ;   in Loop: Header=BB2_350 Depth=3
	v_and_b32_e32 v2, 0x7c, v21
	v_and_b32_e32 v0, 3, v21
	v_cmp_ne_u32_e32 vcc, s39, v2
                                        ; implicit-def: $vgpr19
	s_and_saveexec_b64 s[76:77], vcc
	s_xor_b64 s[76:77], exec, s[76:77]
	s_cbranch_execz .LBB2_738
; %bb.737:                              ;   in Loop: Header=BB2_350 Depth=3
	v_ffbh_u32_e32 v19, v0
	v_min_u32_e32 v19, 32, v19
	v_bfe_u32 v2, v21, 2, 5
	v_subrev_u32_e32 v27, 29, v19
	v_lshlrev_b64 v[27:28], v27, v[21:22]
	v_sub_u32_e32 v19, 30, v19
	v_cmp_eq_u32_e32 vcc, 0, v2
	v_cndmask_b32_e32 v2, v2, v19, vcc
	v_lshlrev_b32_e32 v19, 24, v21
	v_and_b32_e32 v22, 3, v27
	v_and_b32_e32 v19, 0x80000000, v19
	v_cndmask_b32_e32 v0, v0, v22, vcc
	v_lshl_add_u32 v2, v2, 23, v19
	v_lshl_or_b32 v0, v0, 21, v2
	v_add_u32_e32 v19, 0x38000000, v0
                                        ; implicit-def: $vgpr0
.LBB2_738:                              ;   in Loop: Header=BB2_350 Depth=3
	s_andn2_saveexec_b64 s[76:77], s[76:77]
; %bb.739:                              ;   in Loop: Header=BB2_350 Depth=3
	v_cmp_gt_i16_sdwa vcc, sext(v21), v7 src0_sel:BYTE_0 src1_sel:DWORD
	v_cndmask_b32_e32 v2, v8, v54, vcc
	v_cmp_eq_u32_e32 vcc, 0, v0
	v_cndmask_b32_e32 v19, v55, v2, vcc
; %bb.740:                              ;   in Loop: Header=BB2_350 Depth=3
	s_or_b64 exec, exec, s[76:77]
.LBB2_741:                              ;   in Loop: Header=BB2_350 Depth=3
	s_or_b64 exec, exec, s[74:75]
.LBB2_742:                              ;   in Loop: Header=BB2_350 Depth=3
	s_or_b64 exec, exec, s[18:19]
	v_lshlrev_b32_e32 v2, 24, v36
	v_lshlrev_b32_e32 v22, 16, v23
	v_lshl_or_b32 v0, v57, 8, v59
	v_or3_b32 v2, v22, v2, v0
	v_cmp_ne_u32_e32 vcc, 0, v59
	s_and_saveexec_b64 s[74:75], vcc
	s_cbranch_execz .LBB2_750
; %bb.743:                              ;   in Loop: Header=BB2_350 Depth=3
	v_cmp_ne_u32_e32 vcc, s48, v59
	v_bfrev_b32_e32 v20, 1
	s_and_saveexec_b64 s[76:77], vcc
	s_cbranch_execz .LBB2_749
; %bb.744:                              ;   in Loop: Header=BB2_350 Depth=3
	v_and_b32_e32 v20, 0x7c, v59
	v_and_b32_e32 v22, 3, v59
	v_cmp_ne_u32_e32 vcc, s39, v20
                                        ; implicit-def: $vgpr20
	s_and_saveexec_b64 s[18:19], vcc
	s_xor_b64 s[18:19], exec, s[18:19]
	s_cbranch_execz .LBB2_746
; %bb.745:                              ;   in Loop: Header=BB2_350 Depth=3
	v_ffbh_u32_e32 v23, v22
	v_min_u32_e32 v23, 32, v23
	v_bfe_u32 v20, v59, 2, 5
	v_subrev_u32_e32 v27, 29, v23
	v_lshlrev_b64 v[27:28], v27, v[2:3]
	v_sub_u32_e32 v23, 30, v23
	v_cmp_eq_u32_e32 vcc, 0, v20
	v_cndmask_b32_e32 v20, v20, v23, vcc
	v_lshlrev_b32_e32 v23, 24, v59
	v_and_b32_e32 v27, 3, v27
	v_and_b32_e32 v23, 0x80000000, v23
	v_cndmask_b32_e32 v22, v22, v27, vcc
	v_lshl_add_u32 v20, v20, 23, v23
	v_lshl_or_b32 v20, v22, 21, v20
	v_add_u32_e32 v20, 0x38000000, v20
                                        ; implicit-def: $vgpr22
                                        ; implicit-def: $vgpr59
.LBB2_746:                              ;   in Loop: Header=BB2_350 Depth=3
	s_andn2_saveexec_b64 s[78:79], s[18:19]
; %bb.747:                              ;   in Loop: Header=BB2_350 Depth=3
	v_and_b32_e32 v20, 0x80, v59
	v_cmp_eq_u32_e64 s[18:19], 0, v20
	v_cmp_eq_u32_e32 vcc, 0, v22
	v_cndmask_b32_e64 v20, v8, v54, s[18:19]
	v_cndmask_b32_e32 v20, v55, v20, vcc
; %bb.748:                              ;   in Loop: Header=BB2_350 Depth=3
	s_or_b64 exec, exec, s[78:79]
.LBB2_749:                              ;   in Loop: Header=BB2_350 Depth=3
	s_or_b64 exec, exec, s[76:77]
.LBB2_750:                              ;   in Loop: Header=BB2_350 Depth=3
	s_or_b64 exec, exec, s[74:75]
	v_add_f32_e32 v27, v19, v20
	v_and_b32_e32 v22, 0x7f800000, v27
	v_mov_b32_e32 v23, v3
	v_cmp_ne_u64_e32 vcc, s[56:57], v[22:23]
	v_and_b32_e32 v19, 0x7fffff, v27
	v_mov_b32_e32 v20, v3
                                        ; implicit-def: $vgpr22
	s_and_saveexec_b64 s[18:19], vcc
	s_xor_b64 s[74:75], exec, s[18:19]
	s_cbranch_execz .LBB2_764
; %bb.751:                              ;   in Loop: Header=BB2_350 Depth=3
	v_and_b32_e32 v22, 0x7fffffff, v27
	v_mov_b32_e32 v23, v3
	v_cmp_gt_u64_e32 vcc, s[58:59], v[22:23]
	v_and_b32_sdwa v23, v27, s48 dst_sel:DWORD dst_unused:UNUSED_PAD src0_sel:BYTE_3 src1_sel:DWORD
                                        ; implicit-def: $vgpr22
	s_and_saveexec_b64 s[18:19], vcc
	s_xor_b64 s[76:77], exec, s[18:19]
	s_cbranch_execz .LBB2_761
; %bb.752:                              ;   in Loop: Header=BB2_350 Depth=3
	v_mov_b32_e32 v22, 0
	v_cmp_ne_u32_e32 vcc, 0, v27
	s_and_saveexec_b64 s[78:79], vcc
	s_cbranch_execz .LBB2_760
; %bb.753:                              ;   in Loop: Header=BB2_350 Depth=3
	v_bfe_u32 v22, v27, 23, 8
	v_cmp_gt_u32_e64 s[18:19], s49, v22
	v_sub_u32_e32 v27, 0x71, v22
	v_cmp_eq_u32_e32 vcc, 0, v22
	v_cndmask_b32_e64 v27, 0, v27, s[18:19]
	v_cndmask_b32_e32 v36, v27, v12, vcc
	v_or_b32_e32 v28, 0x800000, v19
	v_add_u32_e32 v27, 21, v36
	v_cndmask_b32_e32 v19, v28, v19, vcc
	v_lshlrev_b64 v[27:28], v27, -1
	v_add_u32_e32 v37, 20, v36
	v_bfi_b32 v27, v27, 0, v19
	v_lshlrev_b64 v[37:38], v37, 1
	v_lshrrev_b64 v[19:20], v36, v[19:20]
	v_bfi_b32 v28, v28, 0, 0
	v_cmp_eq_u64_e64 s[18:19], v[27:28], v[37:38]
	v_mov_b32_e32 v28, v20
	v_mov_b32_e32 v27, v19
	s_and_saveexec_b64 s[88:89], s[18:19]
; %bb.754:                              ;   in Loop: Header=BB2_350 Depth=3
	v_bfe_u32 v20, v19, 21, 1
	v_add_co_u32_e64 v20, s[18:19], v19, v20
	v_add_co_u32_e64 v27, s[18:19], -1, v20
; %bb.755:                              ;   in Loop: Header=BB2_350 Depth=3
	s_or_b64 exec, exec, s[88:89]
	v_add_u32_e32 v20, 0xffffff81, v22
	v_cndmask_b32_e32 v20, v20, v48, vcc
	v_lshrrev_b32_e32 v22, 23, v19
	v_add3_u32 v36, v36, v20, v22
	v_add_u32_e32 v28, 14, v36
	v_and_b32_e32 v20, 0x1fffff, v27
	v_add_u32_e32 v19, v20, v19
	v_mov_b32_e32 v20, v3
	v_cmp_ne_u32_e32 vcc, 0, v28
                                        ; implicit-def: $vgpr22
	s_and_saveexec_b64 s[18:19], vcc
	s_xor_b64 s[18:19], exec, s[18:19]
; %bb.756:                              ;   in Loop: Header=BB2_350 Depth=3
	v_cmp_lt_u64_e32 vcc, s[60:61], v[19:20]
	v_add_u32_e32 v22, 15, v36
	v_cndmask_b32_e64 v27, 0, 1, vcc
	v_cndmask_b32_e32 v22, v28, v22, vcc
	v_lshrrev_b64 v[19:20], v27, v[19:20]
; %bb.757:                              ;   in Loop: Header=BB2_350 Depth=3
	s_andn2_saveexec_b64 s[18:19], s[18:19]
; %bb.758:                              ;   in Loop: Header=BB2_350 Depth=3
	v_bfe_u32 v22, v19, 23, 1
; %bb.759:                              ;   in Loop: Header=BB2_350 Depth=3
	s_or_b64 exec, exec, s[18:19]
	v_lshrrev_b64 v[19:20], 21, v[19:20]
	v_cmp_gt_i32_e32 vcc, 32, v22
	v_cndmask_b32_e32 v20, 0, v20, vcc
	v_cndmask_b32_e32 v19, 3, v19, vcc
	v_cmp_eq_u64_e64 s[18:19], 0, v[19:20]
	v_min_i32_e32 v20, 31, v22
	v_lshlrev_b32_e32 v20, 2, v20
	v_cmp_eq_u32_e32 vcc, 0, v22
	v_and_b32_e32 v20, 0xfc, v20
	v_and_or_b32 v19, v19, 3, v20
	s_and_b64 s[18:19], vcc, s[18:19]
	v_cndmask_b32_e64 v19, v19, 0, s[18:19]
	v_or_b32_e32 v22, v19, v23
.LBB2_760:                              ;   in Loop: Header=BB2_350 Depth=3
	s_or_b64 exec, exec, s[78:79]
                                        ; implicit-def: $vgpr23
.LBB2_761:                              ;   in Loop: Header=BB2_350 Depth=3
	s_andn2_saveexec_b64 s[18:19], s[76:77]
; %bb.762:                              ;   in Loop: Header=BB2_350 Depth=3
	v_or_b32_e32 v22, 0x7b, v23
; %bb.763:                              ;   in Loop: Header=BB2_350 Depth=3
	s_or_b64 exec, exec, s[18:19]
                                        ; implicit-def: $vgpr27
                                        ; implicit-def: $vgpr19_vgpr20
.LBB2_764:                              ;   in Loop: Header=BB2_350 Depth=3
	s_andn2_saveexec_b64 s[18:19], s[74:75]
	s_cbranch_execz .LBB2_770
; %bb.765:                              ;   in Loop: Header=BB2_350 Depth=3
	v_cmp_ne_u64_e32 vcc, 0, v[19:20]
                                        ; implicit-def: $vgpr22
	s_and_saveexec_b64 s[74:75], vcc
	s_xor_b64 s[74:75], exec, s[74:75]
; %bb.766:                              ;   in Loop: Header=BB2_350 Depth=3
	v_or_b32_sdwa v22, v27, s50 dst_sel:DWORD dst_unused:UNUSED_PAD src0_sel:BYTE_3 src1_sel:DWORD
                                        ; implicit-def: $vgpr27
; %bb.767:                              ;   in Loop: Header=BB2_350 Depth=3
	s_andn2_saveexec_b64 s[74:75], s[74:75]
; %bb.768:                              ;   in Loop: Header=BB2_350 Depth=3
	v_cmp_lt_i32_e32 vcc, -1, v27
	v_cndmask_b32_e32 v22, v49, v11, vcc
; %bb.769:                              ;   in Loop: Header=BB2_350 Depth=3
	s_or_b64 exec, exec, s[74:75]
.LBB2_770:                              ;   in Loop: Header=BB2_350 Depth=3
	s_or_b64 exec, exec, s[18:19]
	v_lshrrev_b16_e32 v19, 8, v21
	v_cmp_ne_u16_e32 vcc, 0, v19
	v_mov_b32_e32 v23, 0
	v_mov_b32_e32 v27, 0
	s_and_saveexec_b64 s[18:19], vcc
	s_cbranch_execz .LBB2_778
; %bb.771:                              ;   in Loop: Header=BB2_350 Depth=3
	v_cmp_ne_u16_e32 vcc, s48, v19
	v_bfrev_b32_e32 v27, 1
	s_and_saveexec_b64 s[74:75], vcc
	s_cbranch_execz .LBB2_777
; %bb.772:                              ;   in Loop: Header=BB2_350 Depth=3
	v_and_b32_e32 v20, 0x7c, v19
	v_and_b32_e32 v28, 3, v19
	v_cmp_ne_u32_e32 vcc, s39, v20
                                        ; implicit-def: $vgpr27
	s_and_saveexec_b64 s[76:77], vcc
	s_xor_b64 s[76:77], exec, s[76:77]
	s_cbranch_execz .LBB2_774
; %bb.773:                              ;   in Loop: Header=BB2_350 Depth=3
	v_ffbh_u32_e32 v36, v28
	v_min_u32_e32 v36, 32, v36
	v_mov_b32_e32 v20, v3
	v_subrev_u32_e32 v37, 29, v36
	v_bfe_u32 v27, v19, 2, 5
	v_lshlrev_b64 v[19:20], v37, v[19:20]
	v_sub_u32_e32 v20, 30, v36
	v_cmp_eq_u32_e32 vcc, 0, v27
	v_cndmask_b32_e32 v20, v27, v20, vcc
	v_lshlrev_b32_e32 v27, 16, v21
	v_and_b32_e32 v19, 3, v19
	v_and_b32_e32 v27, 0x80000000, v27
	v_cndmask_b32_e32 v19, v28, v19, vcc
	v_lshl_add_u32 v20, v20, 23, v27
	v_lshl_or_b32 v19, v19, 21, v20
	v_add_u32_e32 v27, 0x38000000, v19
                                        ; implicit-def: $vgpr28
.LBB2_774:                              ;   in Loop: Header=BB2_350 Depth=3
	s_andn2_saveexec_b64 s[76:77], s[76:77]
; %bb.775:                              ;   in Loop: Header=BB2_350 Depth=3
	v_cmp_lt_i16_e32 vcc, -1, v21
	v_cndmask_b32_e32 v19, v8, v54, vcc
	v_cmp_eq_u32_e32 vcc, 0, v28
	v_cndmask_b32_e32 v27, v55, v19, vcc
; %bb.776:                              ;   in Loop: Header=BB2_350 Depth=3
	s_or_b64 exec, exec, s[76:77]
.LBB2_777:                              ;   in Loop: Header=BB2_350 Depth=3
	s_or_b64 exec, exec, s[74:75]
.LBB2_778:                              ;   in Loop: Header=BB2_350 Depth=3
	s_or_b64 exec, exec, s[18:19]
	v_lshrrev_b16_e32 v19, 8, v0
	v_cmp_ne_u16_e32 vcc, 0, v19
	s_and_saveexec_b64 s[18:19], vcc
	s_cbranch_execz .LBB2_786
; %bb.779:                              ;   in Loop: Header=BB2_350 Depth=3
	v_cmp_ne_u16_e32 vcc, s48, v19
	v_bfrev_b32_e32 v23, 1
	s_and_saveexec_b64 s[74:75], vcc
	s_cbranch_execz .LBB2_785
; %bb.780:                              ;   in Loop: Header=BB2_350 Depth=3
	v_and_b32_e32 v20, 0x7c, v19
	v_and_b32_e32 v28, 3, v19
	v_cmp_ne_u32_e32 vcc, s39, v20
                                        ; implicit-def: $vgpr23
	s_and_saveexec_b64 s[76:77], vcc
	s_xor_b64 s[76:77], exec, s[76:77]
	s_cbranch_execz .LBB2_782
; %bb.781:                              ;   in Loop: Header=BB2_350 Depth=3
	v_ffbh_u32_e32 v36, v28
	v_min_u32_e32 v36, 32, v36
	v_mov_b32_e32 v20, v3
	v_subrev_u32_e32 v37, 29, v36
	v_bfe_u32 v23, v19, 2, 5
	v_lshlrev_b64 v[19:20], v37, v[19:20]
	v_sub_u32_e32 v20, 30, v36
	v_cmp_eq_u32_e32 vcc, 0, v23
	v_lshlrev_b32_e32 v0, 16, v0
	v_and_b32_e32 v19, 3, v19
	v_cndmask_b32_e32 v20, v23, v20, vcc
	v_and_b32_e32 v0, 0x80000000, v0
	v_cndmask_b32_e32 v19, v28, v19, vcc
	v_lshl_add_u32 v0, v20, 23, v0
	v_lshl_or_b32 v0, v19, 21, v0
	v_add_u32_e32 v23, 0x38000000, v0
                                        ; implicit-def: $vgpr28
                                        ; implicit-def: $vgpr0
.LBB2_782:                              ;   in Loop: Header=BB2_350 Depth=3
	s_andn2_saveexec_b64 s[76:77], s[76:77]
; %bb.783:                              ;   in Loop: Header=BB2_350 Depth=3
	v_cmp_lt_i16_e32 vcc, -1, v0
	v_cndmask_b32_e32 v0, v8, v54, vcc
	v_cmp_eq_u32_e32 vcc, 0, v28
	v_cndmask_b32_e32 v23, v55, v0, vcc
; %bb.784:                              ;   in Loop: Header=BB2_350 Depth=3
	s_or_b64 exec, exec, s[76:77]
.LBB2_785:                              ;   in Loop: Header=BB2_350 Depth=3
	s_or_b64 exec, exec, s[74:75]
.LBB2_786:                              ;   in Loop: Header=BB2_350 Depth=3
	s_or_b64 exec, exec, s[18:19]
	v_add_f32_e32 v27, v27, v23
	v_and_b32_e32 v36, 0x7f800000, v27
	v_mov_b32_e32 v37, v3
	v_cmp_ne_u64_e32 vcc, s[56:57], v[36:37]
	v_and_b32_e32 v19, 0x7fffff, v27
	v_mov_b32_e32 v20, v3
                                        ; implicit-def: $vgpr23
	s_and_saveexec_b64 s[18:19], vcc
	s_xor_b64 s[74:75], exec, s[18:19]
	s_cbranch_execz .LBB2_800
; %bb.787:                              ;   in Loop: Header=BB2_350 Depth=3
	v_and_b32_e32 v36, 0x7fffffff, v27
	v_mov_b32_e32 v37, v3
	v_cmp_gt_u64_e32 vcc, s[58:59], v[36:37]
	v_and_b32_sdwa v0, v27, s48 dst_sel:DWORD dst_unused:UNUSED_PAD src0_sel:BYTE_3 src1_sel:DWORD
                                        ; implicit-def: $vgpr23
	s_and_saveexec_b64 s[18:19], vcc
	s_xor_b64 s[76:77], exec, s[18:19]
	s_cbranch_execz .LBB2_797
; %bb.788:                              ;   in Loop: Header=BB2_350 Depth=3
	v_mov_b32_e32 v23, 0
	v_cmp_ne_u32_e32 vcc, 0, v27
	s_and_saveexec_b64 s[78:79], vcc
	s_cbranch_execz .LBB2_796
; %bb.789:                              ;   in Loop: Header=BB2_350 Depth=3
	v_bfe_u32 v23, v27, 23, 8
	v_cmp_gt_u32_e64 s[18:19], s49, v23
	v_sub_u32_e32 v27, 0x71, v23
	v_cmp_eq_u32_e32 vcc, 0, v23
	v_cndmask_b32_e64 v27, 0, v27, s[18:19]
	v_cndmask_b32_e32 v36, v27, v12, vcc
	v_or_b32_e32 v28, 0x800000, v19
	v_add_u32_e32 v27, 21, v36
	v_cndmask_b32_e32 v19, v28, v19, vcc
	v_lshlrev_b64 v[27:28], v27, -1
	v_add_u32_e32 v37, 20, v36
	v_bfi_b32 v27, v27, 0, v19
	v_lshlrev_b64 v[37:38], v37, 1
	v_lshrrev_b64 v[19:20], v36, v[19:20]
	v_bfi_b32 v28, v28, 0, 0
	v_cmp_eq_u64_e64 s[18:19], v[27:28], v[37:38]
	v_mov_b32_e32 v28, v20
	v_mov_b32_e32 v27, v19
	s_and_saveexec_b64 s[88:89], s[18:19]
; %bb.790:                              ;   in Loop: Header=BB2_350 Depth=3
	v_bfe_u32 v20, v19, 21, 1
	v_add_co_u32_e64 v20, s[18:19], v19, v20
	v_add_co_u32_e64 v27, s[18:19], -1, v20
; %bb.791:                              ;   in Loop: Header=BB2_350 Depth=3
	s_or_b64 exec, exec, s[88:89]
	v_add_u32_e32 v20, 0xffffff81, v23
	v_cndmask_b32_e32 v20, v20, v48, vcc
	v_lshrrev_b32_e32 v23, 23, v19
	v_add3_u32 v36, v36, v20, v23
	v_add_u32_e32 v28, 14, v36
	v_and_b32_e32 v20, 0x1fffff, v27
	v_add_u32_e32 v19, v20, v19
	v_mov_b32_e32 v20, v3
	v_cmp_ne_u32_e32 vcc, 0, v28
                                        ; implicit-def: $vgpr23
	s_and_saveexec_b64 s[18:19], vcc
	s_xor_b64 s[18:19], exec, s[18:19]
; %bb.792:                              ;   in Loop: Header=BB2_350 Depth=3
	v_cmp_lt_u64_e32 vcc, s[60:61], v[19:20]
	v_add_u32_e32 v23, 15, v36
	v_cndmask_b32_e64 v27, 0, 1, vcc
	v_cndmask_b32_e32 v23, v28, v23, vcc
	v_lshrrev_b64 v[19:20], v27, v[19:20]
; %bb.793:                              ;   in Loop: Header=BB2_350 Depth=3
	s_andn2_saveexec_b64 s[18:19], s[18:19]
; %bb.794:                              ;   in Loop: Header=BB2_350 Depth=3
	v_bfe_u32 v23, v19, 23, 1
; %bb.795:                              ;   in Loop: Header=BB2_350 Depth=3
	s_or_b64 exec, exec, s[18:19]
	v_lshrrev_b64 v[19:20], 21, v[19:20]
	v_cmp_gt_i32_e32 vcc, 32, v23
	v_cndmask_b32_e32 v20, 0, v20, vcc
	v_cndmask_b32_e32 v19, 3, v19, vcc
	v_cmp_eq_u64_e64 s[18:19], 0, v[19:20]
	v_min_i32_e32 v20, 31, v23
	v_lshlrev_b32_e32 v20, 2, v20
	v_cmp_eq_u32_e32 vcc, 0, v23
	v_and_b32_e32 v20, 0xfc, v20
	v_and_or_b32 v19, v19, 3, v20
	s_and_b64 s[18:19], vcc, s[18:19]
	v_cndmask_b32_e64 v19, v19, 0, s[18:19]
	v_or_b32_e32 v23, v19, v0
.LBB2_796:                              ;   in Loop: Header=BB2_350 Depth=3
	s_or_b64 exec, exec, s[78:79]
                                        ; implicit-def: $vgpr0
.LBB2_797:                              ;   in Loop: Header=BB2_350 Depth=3
	s_andn2_saveexec_b64 s[18:19], s[76:77]
; %bb.798:                              ;   in Loop: Header=BB2_350 Depth=3
	v_or_b32_e32 v23, 0x7b, v0
; %bb.799:                              ;   in Loop: Header=BB2_350 Depth=3
	s_or_b64 exec, exec, s[18:19]
                                        ; implicit-def: $vgpr27
                                        ; implicit-def: $vgpr19_vgpr20
.LBB2_800:                              ;   in Loop: Header=BB2_350 Depth=3
	s_andn2_saveexec_b64 s[18:19], s[74:75]
	s_cbranch_execz .LBB2_806
; %bb.801:                              ;   in Loop: Header=BB2_350 Depth=3
	v_cmp_ne_u64_e32 vcc, 0, v[19:20]
                                        ; implicit-def: $vgpr23
	s_and_saveexec_b64 s[74:75], vcc
	s_xor_b64 s[74:75], exec, s[74:75]
; %bb.802:                              ;   in Loop: Header=BB2_350 Depth=3
	v_or_b32_sdwa v23, v27, s50 dst_sel:DWORD dst_unused:UNUSED_PAD src0_sel:BYTE_3 src1_sel:DWORD
                                        ; implicit-def: $vgpr27
; %bb.803:                              ;   in Loop: Header=BB2_350 Depth=3
	s_andn2_saveexec_b64 s[74:75], s[74:75]
; %bb.804:                              ;   in Loop: Header=BB2_350 Depth=3
	v_cmp_lt_i32_e32 vcc, -1, v27
	v_cndmask_b32_e32 v23, v49, v11, vcc
; %bb.805:                              ;   in Loop: Header=BB2_350 Depth=3
	s_or_b64 exec, exec, s[74:75]
.LBB2_806:                              ;   in Loop: Header=BB2_350 Depth=3
	s_or_b64 exec, exec, s[18:19]
	v_lshrrev_b32_e32 v0, 16, v21
	v_cmp_ne_u16_sdwa s[74:75], v0, v3 src0_sel:BYTE_0 src1_sel:DWORD
	v_mov_b32_e32 v19, 0
	v_mov_b32_e32 v20, 0
	s_and_saveexec_b64 s[18:19], s[74:75]
	s_cbranch_execz .LBB2_814
; %bb.807:                              ;   in Loop: Header=BB2_350 Depth=3
	v_cmp_ne_u16_sdwa s[76:77], v0, s48 src0_sel:BYTE_0 src1_sel:DWORD
	v_bfrev_b32_e32 v20, 1
	s_and_saveexec_b64 s[74:75], s[76:77]
	s_cbranch_execz .LBB2_813
; %bb.808:                              ;   in Loop: Header=BB2_350 Depth=3
	v_and_b32_e32 v20, 0x7c0000, v21
	v_bfe_u32 v27, v21, 16, 2
	v_cmp_ne_u32_e32 vcc, s51, v20
                                        ; implicit-def: $vgpr20
	s_and_saveexec_b64 s[76:77], vcc
	s_xor_b64 s[76:77], exec, s[76:77]
	s_cbranch_execz .LBB2_810
; %bb.809:                              ;   in Loop: Header=BB2_350 Depth=3
	v_ffbh_u32_e32 v28, v27
	v_min_u32_e32 v28, 32, v28
	v_subrev_u32_e32 v36, 29, v28
	v_lshlrev_b64 v[36:37], v36, v[0:1]
	v_bfe_u32 v20, v21, 18, 5
	v_sub_u32_e32 v0, 30, v28
	v_and_b32_e32 v28, 3, v36
	v_cmp_eq_u32_e32 vcc, 0, v20
	v_cndmask_b32_e32 v0, v20, v0, vcc
	v_cndmask_b32_e32 v20, v27, v28, vcc
	v_lshlrev_b32_e32 v27, 8, v21
	v_and_b32_e32 v27, 0x80000000, v27
	v_lshl_add_u32 v0, v0, 23, v27
	v_lshl_or_b32 v0, v20, 21, v0
	v_add_u32_e32 v20, 0x38000000, v0
                                        ; implicit-def: $vgpr27
                                        ; implicit-def: $vgpr0
.LBB2_810:                              ;   in Loop: Header=BB2_350 Depth=3
	s_andn2_saveexec_b64 s[76:77], s[76:77]
; %bb.811:                              ;   in Loop: Header=BB2_350 Depth=3
	v_cmp_gt_i16_sdwa vcc, sext(v0), v7 src0_sel:BYTE_0 src1_sel:DWORD
	v_cndmask_b32_e32 v0, v8, v54, vcc
	v_cmp_eq_u32_e32 vcc, 0, v27
	v_cndmask_b32_e32 v20, v55, v0, vcc
; %bb.812:                              ;   in Loop: Header=BB2_350 Depth=3
	s_or_b64 exec, exec, s[76:77]
.LBB2_813:                              ;   in Loop: Header=BB2_350 Depth=3
	s_or_b64 exec, exec, s[74:75]
.LBB2_814:                              ;   in Loop: Header=BB2_350 Depth=3
	s_or_b64 exec, exec, s[18:19]
	v_and_b32_sdwa v27, v2, s37 dst_sel:DWORD dst_unused:UNUSED_PAD src0_sel:WORD_1 src1_sel:DWORD
	v_lshrrev_b32_e32 v0, 16, v2
	v_cmp_ne_u16_e32 vcc, 0, v27
	s_and_saveexec_b64 s[18:19], vcc
	s_cbranch_execz .LBB2_822
; %bb.815:                              ;   in Loop: Header=BB2_350 Depth=3
	v_cmp_ne_u16_e32 vcc, s48, v27
	v_bfrev_b32_e32 v19, 1
	s_and_saveexec_b64 s[74:75], vcc
	s_cbranch_execz .LBB2_821
; %bb.816:                              ;   in Loop: Header=BB2_350 Depth=3
	v_and_b32_e32 v19, 0x7c0000, v2
	v_bfe_u32 v27, v2, 16, 2
	v_cmp_ne_u32_e32 vcc, s51, v19
                                        ; implicit-def: $vgpr19
	s_and_saveexec_b64 s[76:77], vcc
	s_xor_b64 s[76:77], exec, s[76:77]
	s_cbranch_execz .LBB2_818
; %bb.817:                              ;   in Loop: Header=BB2_350 Depth=3
	v_ffbh_u32_e32 v28, v27
	v_min_u32_e32 v28, 32, v28
	v_subrev_u32_e32 v36, 29, v28
	v_lshlrev_b64 v[36:37], v36, v[0:1]
	v_bfe_u32 v19, v2, 18, 5
	v_sub_u32_e32 v0, 30, v28
	v_and_b32_e32 v28, 3, v36
	v_cmp_eq_u32_e32 vcc, 0, v19
	v_cndmask_b32_e32 v0, v19, v0, vcc
	v_cndmask_b32_e32 v19, v27, v28, vcc
	v_lshlrev_b32_e32 v27, 8, v2
	v_and_b32_e32 v27, 0x80000000, v27
	v_lshl_add_u32 v0, v0, 23, v27
	v_lshl_or_b32 v0, v19, 21, v0
	v_add_u32_e32 v19, 0x38000000, v0
                                        ; implicit-def: $vgpr27
                                        ; implicit-def: $vgpr0
.LBB2_818:                              ;   in Loop: Header=BB2_350 Depth=3
	s_andn2_saveexec_b64 s[76:77], s[76:77]
; %bb.819:                              ;   in Loop: Header=BB2_350 Depth=3
	v_cmp_gt_i16_sdwa vcc, sext(v0), v7 src0_sel:BYTE_0 src1_sel:DWORD
	v_cndmask_b32_e32 v0, v8, v54, vcc
	v_cmp_eq_u32_e32 vcc, 0, v27
	v_cndmask_b32_e32 v19, v55, v0, vcc
; %bb.820:                              ;   in Loop: Header=BB2_350 Depth=3
	s_or_b64 exec, exec, s[76:77]
.LBB2_821:                              ;   in Loop: Header=BB2_350 Depth=3
	s_or_b64 exec, exec, s[74:75]
.LBB2_822:                              ;   in Loop: Header=BB2_350 Depth=3
	s_or_b64 exec, exec, s[18:19]
	v_add_f32_e32 v28, v20, v19
	v_and_b32_e32 v36, 0x7f800000, v28
	v_mov_b32_e32 v37, v3
	v_cmp_ne_u64_e32 vcc, s[56:57], v[36:37]
	v_and_b32_e32 v19, 0x7fffff, v28
	v_mov_b32_e32 v20, v3
                                        ; implicit-def: $vgpr27
	s_and_saveexec_b64 s[18:19], vcc
	s_xor_b64 s[74:75], exec, s[18:19]
	s_cbranch_execz .LBB2_836
; %bb.823:                              ;   in Loop: Header=BB2_350 Depth=3
	v_and_b32_e32 v36, 0x7fffffff, v28
	v_mov_b32_e32 v37, v3
	v_cmp_gt_u64_e32 vcc, s[58:59], v[36:37]
	v_and_b32_sdwa v0, v28, s48 dst_sel:DWORD dst_unused:UNUSED_PAD src0_sel:BYTE_3 src1_sel:DWORD
                                        ; implicit-def: $vgpr27
	s_and_saveexec_b64 s[18:19], vcc
	s_xor_b64 s[76:77], exec, s[18:19]
	s_cbranch_execz .LBB2_833
; %bb.824:                              ;   in Loop: Header=BB2_350 Depth=3
	v_mov_b32_e32 v27, 0
	v_cmp_ne_u32_e32 vcc, 0, v28
	s_and_saveexec_b64 s[78:79], vcc
	s_cbranch_execz .LBB2_832
; %bb.825:                              ;   in Loop: Header=BB2_350 Depth=3
	v_bfe_u32 v36, v28, 23, 8
	v_cmp_gt_u32_e64 s[18:19], s49, v36
	v_sub_u32_e32 v27, 0x71, v36
	v_cmp_eq_u32_e32 vcc, 0, v36
	v_cndmask_b32_e64 v27, 0, v27, s[18:19]
	v_cndmask_b32_e32 v37, v27, v12, vcc
	v_or_b32_e32 v28, 0x800000, v19
	v_add_u32_e32 v27, 21, v37
	v_cndmask_b32_e32 v19, v28, v19, vcc
	v_lshlrev_b64 v[27:28], v27, -1
	v_add_u32_e32 v38, 20, v37
	v_bfi_b32 v27, v27, 0, v19
	v_lshlrev_b64 v[38:39], v38, 1
	v_lshrrev_b64 v[19:20], v37, v[19:20]
	v_bfi_b32 v28, v28, 0, 0
	v_cmp_eq_u64_e64 s[18:19], v[27:28], v[38:39]
	v_mov_b32_e32 v28, v20
	v_mov_b32_e32 v27, v19
	s_and_saveexec_b64 s[88:89], s[18:19]
; %bb.826:                              ;   in Loop: Header=BB2_350 Depth=3
	v_bfe_u32 v20, v19, 21, 1
	v_add_co_u32_e64 v20, s[18:19], v19, v20
	v_add_co_u32_e64 v27, s[18:19], -1, v20
; %bb.827:                              ;   in Loop: Header=BB2_350 Depth=3
	s_or_b64 exec, exec, s[88:89]
	v_add_u32_e32 v20, 0xffffff81, v36
	v_cndmask_b32_e32 v20, v20, v48, vcc
	v_lshrrev_b32_e32 v28, 23, v19
	v_add3_u32 v36, v37, v20, v28
	v_add_u32_e32 v28, 14, v36
	v_and_b32_e32 v20, 0x1fffff, v27
	v_add_u32_e32 v19, v20, v19
	v_mov_b32_e32 v20, v3
	v_cmp_ne_u32_e32 vcc, 0, v28
                                        ; implicit-def: $vgpr27
	s_and_saveexec_b64 s[18:19], vcc
	s_xor_b64 s[18:19], exec, s[18:19]
; %bb.828:                              ;   in Loop: Header=BB2_350 Depth=3
	v_cmp_lt_u64_e32 vcc, s[60:61], v[19:20]
	v_add_u32_e32 v27, 15, v36
	v_cndmask_b32_e32 v27, v28, v27, vcc
	v_cndmask_b32_e64 v28, 0, 1, vcc
	v_lshrrev_b64 v[19:20], v28, v[19:20]
; %bb.829:                              ;   in Loop: Header=BB2_350 Depth=3
	s_andn2_saveexec_b64 s[18:19], s[18:19]
; %bb.830:                              ;   in Loop: Header=BB2_350 Depth=3
	v_bfe_u32 v27, v19, 23, 1
; %bb.831:                              ;   in Loop: Header=BB2_350 Depth=3
	s_or_b64 exec, exec, s[18:19]
	v_lshrrev_b64 v[19:20], 21, v[19:20]
	v_cmp_gt_i32_e32 vcc, 32, v27
	v_cndmask_b32_e32 v20, 0, v20, vcc
	v_cndmask_b32_e32 v19, 3, v19, vcc
	v_cmp_eq_u64_e64 s[18:19], 0, v[19:20]
	v_min_i32_e32 v20, 31, v27
	v_lshlrev_b32_e32 v20, 2, v20
	v_cmp_eq_u32_e32 vcc, 0, v27
	v_and_b32_e32 v20, 0xfc, v20
	v_and_or_b32 v19, v19, 3, v20
	s_and_b64 s[18:19], vcc, s[18:19]
	v_cndmask_b32_e64 v19, v19, 0, s[18:19]
	v_or_b32_e32 v27, v19, v0
.LBB2_832:                              ;   in Loop: Header=BB2_350 Depth=3
	s_or_b64 exec, exec, s[78:79]
                                        ; implicit-def: $vgpr0
.LBB2_833:                              ;   in Loop: Header=BB2_350 Depth=3
	s_andn2_saveexec_b64 s[18:19], s[76:77]
; %bb.834:                              ;   in Loop: Header=BB2_350 Depth=3
	v_or_b32_e32 v27, 0x7b, v0
; %bb.835:                              ;   in Loop: Header=BB2_350 Depth=3
	s_or_b64 exec, exec, s[18:19]
                                        ; implicit-def: $vgpr28
                                        ; implicit-def: $vgpr19_vgpr20
.LBB2_836:                              ;   in Loop: Header=BB2_350 Depth=3
	s_andn2_saveexec_b64 s[18:19], s[74:75]
	s_cbranch_execz .LBB2_842
; %bb.837:                              ;   in Loop: Header=BB2_350 Depth=3
	v_cmp_ne_u64_e32 vcc, 0, v[19:20]
                                        ; implicit-def: $vgpr27
	s_and_saveexec_b64 s[74:75], vcc
	s_xor_b64 s[74:75], exec, s[74:75]
; %bb.838:                              ;   in Loop: Header=BB2_350 Depth=3
	v_or_b32_sdwa v27, v28, s50 dst_sel:DWORD dst_unused:UNUSED_PAD src0_sel:BYTE_3 src1_sel:DWORD
                                        ; implicit-def: $vgpr28
; %bb.839:                              ;   in Loop: Header=BB2_350 Depth=3
	s_andn2_saveexec_b64 s[74:75], s[74:75]
; %bb.840:                              ;   in Loop: Header=BB2_350 Depth=3
	v_cmp_lt_i32_e32 vcc, -1, v28
	v_cndmask_b32_e32 v27, v49, v11, vcc
; %bb.841:                              ;   in Loop: Header=BB2_350 Depth=3
	s_or_b64 exec, exec, s[74:75]
.LBB2_842:                              ;   in Loop: Header=BB2_350 Depth=3
	s_or_b64 exec, exec, s[18:19]
	v_mov_b32_e32 v20, v3
	v_cmp_lt_u64_e32 vcc, s[46:47], v[20:21]
	v_mov_b32_e32 v19, 0
	v_mov_b32_e32 v28, 0
	s_and_saveexec_b64 s[18:19], vcc
	s_cbranch_execz .LBB2_850
; %bb.843:                              ;   in Loop: Header=BB2_350 Depth=3
	v_lshrrev_b32_e32 v0, 24, v21
	v_cmp_ne_u32_e32 vcc, s48, v0
	v_bfrev_b32_e32 v28, 1
	s_and_saveexec_b64 s[74:75], vcc
	s_cbranch_execz .LBB2_849
; %bb.844:                              ;   in Loop: Header=BB2_350 Depth=3
	v_and_b32_e32 v28, 0x7c000000, v21
	v_bfe_u32 v36, v21, 24, 2
	v_cmp_ne_u32_e32 vcc, s52, v28
                                        ; implicit-def: $vgpr28
	s_and_saveexec_b64 s[76:77], vcc
	s_xor_b64 s[76:77], exec, s[76:77]
	s_cbranch_execz .LBB2_846
; %bb.845:                              ;   in Loop: Header=BB2_350 Depth=3
	v_ffbh_u32_e32 v28, v36
	v_min_u32_e32 v28, 32, v28
	v_subrev_u32_e32 v37, 29, v28
	v_bfe_u32 v20, v21, 26, 5
	v_lshlrev_b64 v[37:38], v37, v[0:1]
	v_sub_u32_e32 v0, 30, v28
	v_cmp_eq_u32_e32 vcc, 0, v20
	v_and_b32_e32 v28, 3, v37
	v_cndmask_b32_e32 v0, v20, v0, vcc
	v_and_b32_e32 v21, 0x80000000, v21
	v_cndmask_b32_e32 v20, v36, v28, vcc
	v_lshl_add_u32 v0, v0, 23, v21
	v_lshl_or_b32 v0, v20, 21, v0
	v_add_u32_e32 v28, 0x38000000, v0
                                        ; implicit-def: $vgpr36
                                        ; implicit-def: $vgpr20_vgpr21
.LBB2_846:                              ;   in Loop: Header=BB2_350 Depth=3
	s_andn2_saveexec_b64 s[76:77], s[76:77]
; %bb.847:                              ;   in Loop: Header=BB2_350 Depth=3
	v_cmp_lt_i64_e32 vcc, -1, v[20:21]
	v_cndmask_b32_e32 v0, v8, v54, vcc
	v_cmp_eq_u32_e32 vcc, 0, v36
	v_cndmask_b32_e32 v28, v55, v0, vcc
; %bb.848:                              ;   in Loop: Header=BB2_350 Depth=3
	s_or_b64 exec, exec, s[76:77]
.LBB2_849:                              ;   in Loop: Header=BB2_350 Depth=3
	s_or_b64 exec, exec, s[74:75]
.LBB2_850:                              ;   in Loop: Header=BB2_350 Depth=3
	s_or_b64 exec, exec, s[18:19]
	v_cmp_lt_u32_e32 vcc, s47, v2
	s_and_saveexec_b64 s[18:19], vcc
	s_cbranch_execz .LBB2_858
; %bb.851:                              ;   in Loop: Header=BB2_350 Depth=3
	v_lshrrev_b32_e32 v0, 24, v2
	v_cmp_ne_u32_e32 vcc, s48, v0
	v_bfrev_b32_e32 v19, 1
	s_and_saveexec_b64 s[74:75], vcc
	s_cbranch_execz .LBB2_857
; %bb.852:                              ;   in Loop: Header=BB2_350 Depth=3
	v_and_b32_e32 v19, 0x7c000000, v2
	v_bfe_u32 v20, v2, 24, 2
	v_cmp_ne_u32_e32 vcc, s52, v19
                                        ; implicit-def: $vgpr19
	s_and_saveexec_b64 s[76:77], vcc
	s_xor_b64 s[76:77], exec, s[76:77]
	s_cbranch_execz .LBB2_854
; %bb.853:                              ;   in Loop: Header=BB2_350 Depth=3
	v_ffbh_u32_e32 v21, v20
	v_min_u32_e32 v21, 32, v21
	v_subrev_u32_e32 v36, 29, v21
	v_bfe_u32 v19, v2, 26, 5
	v_lshlrev_b64 v[36:37], v36, v[0:1]
	v_sub_u32_e32 v0, 30, v21
	v_cmp_eq_u32_e32 vcc, 0, v19
	v_and_b32_e32 v21, 3, v36
	v_cndmask_b32_e32 v0, v19, v0, vcc
	v_and_b32_e32 v2, 0x80000000, v2
	v_cndmask_b32_e32 v19, v20, v21, vcc
	v_lshl_add_u32 v0, v0, 23, v2
	v_lshl_or_b32 v0, v19, 21, v0
	v_add_u32_e32 v19, 0x38000000, v0
                                        ; implicit-def: $vgpr20
.LBB2_854:                              ;   in Loop: Header=BB2_350 Depth=3
	s_andn2_saveexec_b64 s[76:77], s[76:77]
; %bb.855:                              ;   in Loop: Header=BB2_350 Depth=3
	v_cmp_lt_i32_e32 vcc, -1, v2
	v_cndmask_b32_e32 v0, v8, v54, vcc
	v_cmp_eq_u32_e32 vcc, 0, v20
	v_cndmask_b32_e32 v19, v55, v0, vcc
; %bb.856:                              ;   in Loop: Header=BB2_350 Depth=3
	s_or_b64 exec, exec, s[76:77]
.LBB2_857:                              ;   in Loop: Header=BB2_350 Depth=3
	s_or_b64 exec, exec, s[74:75]
.LBB2_858:                              ;   in Loop: Header=BB2_350 Depth=3
	s_or_b64 exec, exec, s[18:19]
	v_add_f32_e32 v20, v28, v19
	v_and_b32_e32 v36, 0x7f800000, v20
	v_mov_b32_e32 v37, v3
	v_cmp_ne_u64_e32 vcc, s[56:57], v[36:37]
	v_and_b32_e32 v2, 0x7fffff, v20
                                        ; implicit-def: $vgpr19
	s_and_saveexec_b64 s[18:19], vcc
	s_xor_b64 s[74:75], exec, s[18:19]
	s_cbranch_execz .LBB2_872
; %bb.859:                              ;   in Loop: Header=BB2_350 Depth=3
	v_and_b32_e32 v36, 0x7fffffff, v20
	v_mov_b32_e32 v37, v3
	v_cmp_gt_u64_e32 vcc, s[58:59], v[36:37]
	v_and_b32_sdwa v0, v20, s48 dst_sel:DWORD dst_unused:UNUSED_PAD src0_sel:BYTE_3 src1_sel:DWORD
                                        ; implicit-def: $vgpr19
	s_and_saveexec_b64 s[18:19], vcc
	s_xor_b64 s[76:77], exec, s[18:19]
	s_cbranch_execz .LBB2_869
; %bb.860:                              ;   in Loop: Header=BB2_350 Depth=3
	v_mov_b32_e32 v19, 0
	v_cmp_ne_u32_e32 vcc, 0, v20
	s_and_saveexec_b64 s[78:79], vcc
	s_cbranch_execz .LBB2_868
; %bb.861:                              ;   in Loop: Header=BB2_350 Depth=3
	v_bfe_u32 v28, v20, 23, 8
	v_cmp_gt_u32_e64 s[18:19], s49, v28
	v_sub_u32_e32 v19, 0x71, v28
	v_cmp_eq_u32_e32 vcc, 0, v28
	v_cndmask_b32_e64 v19, 0, v19, s[18:19]
	v_cndmask_b32_e32 v36, v19, v12, vcc
	v_or_b32_e32 v20, 0x800000, v2
	v_add_u32_e32 v19, 21, v36
	v_cndmask_b32_e32 v2, v20, v2, vcc
	v_lshlrev_b64 v[19:20], v19, -1
	v_add_u32_e32 v21, 20, v36
	v_lshlrev_b64 v[37:38], v21, 1
	v_bfi_b32 v20, v20, 0, 0
	v_bfi_b32 v19, v19, 0, v2
	v_cmp_eq_u64_e64 s[18:19], v[19:20], v[37:38]
	v_lshrrev_b64 v[19:20], v36, v[2:3]
	v_mov_b32_e32 v21, v20
	v_mov_b32_e32 v20, v19
	s_and_saveexec_b64 s[88:89], s[18:19]
; %bb.862:                              ;   in Loop: Header=BB2_350 Depth=3
	v_bfe_u32 v2, v19, 21, 1
	v_add_co_u32_e64 v2, s[18:19], v19, v2
	v_add_co_u32_e64 v20, s[18:19], -1, v2
; %bb.863:                              ;   in Loop: Header=BB2_350 Depth=3
	s_or_b64 exec, exec, s[88:89]
	v_add_u32_e32 v2, 0xffffff81, v28
	v_cndmask_b32_e32 v2, v2, v48, vcc
	v_lshrrev_b32_e32 v21, 23, v19
	v_add3_u32 v36, v36, v2, v21
	v_add_u32_e32 v28, 14, v36
	v_and_b32_e32 v2, 0x1fffff, v20
	v_add_u32_e32 v2, v2, v19
	v_cmp_ne_u32_e32 vcc, 0, v28
                                        ; implicit-def: $vgpr19_vgpr20
                                        ; implicit-def: $vgpr21
	s_and_saveexec_b64 s[18:19], vcc
	s_xor_b64 s[18:19], exec, s[18:19]
; %bb.864:                              ;   in Loop: Header=BB2_350 Depth=3
	v_cmp_lt_u64_e32 vcc, s[60:61], v[2:3]
	v_add_u32_e32 v19, 15, v36
	v_cndmask_b32_e32 v21, v28, v19, vcc
	v_cndmask_b32_e64 v19, 0, 1, vcc
	v_lshrrev_b64 v[19:20], v19, v[2:3]
; %bb.865:                              ;   in Loop: Header=BB2_350 Depth=3
	s_andn2_saveexec_b64 s[18:19], s[18:19]
; %bb.866:                              ;   in Loop: Header=BB2_350 Depth=3
	v_mov_b32_e32 v20, v3
	v_bfe_u32 v21, v2, 23, 1
	v_mov_b32_e32 v19, v2
; %bb.867:                              ;   in Loop: Header=BB2_350 Depth=3
	s_or_b64 exec, exec, s[18:19]
	v_lshrrev_b64 v[19:20], 21, v[19:20]
	v_cmp_gt_i32_e32 vcc, 32, v21
	v_cndmask_b32_e32 v20, 0, v20, vcc
	v_cndmask_b32_e32 v19, 3, v19, vcc
	v_min_i32_e32 v2, 31, v21
	v_cmp_eq_u64_e64 s[18:19], 0, v[19:20]
	v_lshlrev_b32_e32 v2, 2, v2
	v_cmp_eq_u32_e32 vcc, 0, v21
	v_and_b32_e32 v2, 0xfc, v2
	v_and_or_b32 v2, v19, 3, v2
	s_and_b64 s[18:19], vcc, s[18:19]
	v_cndmask_b32_e64 v2, v2, 0, s[18:19]
	v_or_b32_e32 v19, v2, v0
.LBB2_868:                              ;   in Loop: Header=BB2_350 Depth=3
	s_or_b64 exec, exec, s[78:79]
                                        ; implicit-def: $vgpr0
.LBB2_869:                              ;   in Loop: Header=BB2_350 Depth=3
	s_andn2_saveexec_b64 s[18:19], s[76:77]
; %bb.870:                              ;   in Loop: Header=BB2_350 Depth=3
	v_or_b32_e32 v19, 0x7b, v0
; %bb.871:                              ;   in Loop: Header=BB2_350 Depth=3
	s_or_b64 exec, exec, s[18:19]
                                        ; implicit-def: $vgpr20
.LBB2_872:                              ;   in Loop: Header=BB2_350 Depth=3
	s_andn2_saveexec_b64 s[18:19], s[74:75]
	s_cbranch_execz .LBB2_349
; %bb.873:                              ;   in Loop: Header=BB2_350 Depth=3
	v_cmp_ne_u64_e32 vcc, 0, v[2:3]
                                        ; implicit-def: $vgpr19
	s_and_saveexec_b64 s[74:75], vcc
	s_xor_b64 s[74:75], exec, s[74:75]
; %bb.874:                              ;   in Loop: Header=BB2_350 Depth=3
	v_or_b32_sdwa v19, v20, s50 dst_sel:DWORD dst_unused:UNUSED_PAD src0_sel:BYTE_3 src1_sel:DWORD
                                        ; implicit-def: $vgpr20
; %bb.875:                              ;   in Loop: Header=BB2_350 Depth=3
	s_andn2_saveexec_b64 s[74:75], s[74:75]
	s_cbranch_execz .LBB2_348
; %bb.876:                              ;   in Loop: Header=BB2_350 Depth=3
	v_cmp_lt_i32_e32 vcc, -1, v20
	v_cndmask_b32_e32 v19, v49, v11, vcc
	s_branch .LBB2_348
.LBB2_877:                              ;   in Loop: Header=BB2_305 Depth=2
	s_or_b64 exec, exec, s[72:73]
	buffer_load_dword v60, off, s[0:3], s32 offset:120 ; 4-byte Folded Reload
	buffer_load_dword v61, off, s[0:3], s32 offset:124 ; 4-byte Folded Reload
	;; [unrolled: 1-line block ×4, first 2 shown]
	s_or_b64 exec, exec, s[62:63]
	s_and_saveexec_b64 s[18:19], s[10:11]
	s_cbranch_execz .LBB2_342
.LBB2_878:                              ;   in Loop: Header=BB2_305 Depth=2
	s_and_saveexec_b64 s[62:63], s[40:41]
	s_xor_b64 s[62:63], exec, s[62:63]
	s_cbranch_execz .LBB2_893
; %bb.879:                              ;   in Loop: Header=BB2_305 Depth=2
	s_and_saveexec_b64 s[72:73], s[12:13]
	s_cbranch_execz .LBB2_892
; %bb.880:                              ;   in Loop: Header=BB2_305 Depth=2
	s_mov_b64 s[76:77], exec
	s_waitcnt vmcnt(0) lgkmcnt(0)
	v_mbcnt_lo_u32_b32 v0, s76, 0
	v_mbcnt_hi_u32_b32 v0, s77, v0
	v_cmp_eq_u32_e32 vcc, 0, v0
	buffer_wbinvl1_vol
	s_and_saveexec_b64 s[74:75], vcc
	s_cbranch_execz .LBB2_882
; %bb.881:                              ;   in Loop: Header=BB2_305 Depth=2
	s_bcnt1_i32_b64 s26, s[76:77]
	v_mov_b32_e32 v2, s26
	ds_add_u64 v0, v[2:3]
	s_trap 2
.LBB2_882:                              ;   in Loop: Header=BB2_305 Depth=2
	s_or_b64 exec, exec, s[74:75]
	s_trap 2
	ds_read_b64 v[19:20], v0
	s_waitcnt lgkmcnt(0)
	buffer_load_dword v0, off, s[0:3], s32 offset:132 ; 4-byte Folded Reload
	s_waitcnt vmcnt(0)
	v_add_co_u32_e32 v40, vcc, v40, v0
	v_addc_co_u32_e32 v41, vcc, 0, v41, vcc
	v_cmp_lt_u64_e32 vcc, v[19:20], v[40:41]
	s_and_saveexec_b64 s[74:75], vcc
	s_cbranch_execz .LBB2_891
; %bb.883:                              ;   in Loop: Header=BB2_305 Depth=2
	s_mov_b32 s26, 0
	s_mov_b64 s[76:77], 0
                                        ; implicit-def: $sgpr78_sgpr79
                                        ; implicit-def: $sgpr88_sgpr89
	s_branch .LBB2_885
.LBB2_884:                              ;   in Loop: Header=BB2_885 Depth=3
	s_or_b64 exec, exec, s[92:93]
	s_and_b64 s[90:91], exec, s[94:95]
	s_or_b64 s[76:77], s[90:91], s[76:77]
	s_andn2_b64 s[78:79], s[78:79], exec
	s_and_b64 s[90:91], s[88:89], exec
	s_or_b64 s[78:79], s[78:79], s[90:91]
	s_andn2_b64 exec, exec, s[76:77]
	s_cbranch_execz .LBB2_889
.LBB2_885:                              ;   Parent Loop BB2_32 Depth=1
                                        ;     Parent Loop BB2_305 Depth=2
                                        ; =>    This Inner Loop Header: Depth=3
	s_add_i32 s26, s26, 1
	s_cmpk_lg_i32 s26, 0x2710
	s_cselect_b64 s[90:91], -1, 0
	s_and_b64 vcc, exec, s[90:91]
	s_cbranch_vccz .LBB2_887
; %bb.886:                              ;   in Loop: Header=BB2_885 Depth=3
	s_mov_b64 s[94:95], -1
	s_or_b64 s[88:89], s[88:89], exec
	s_and_saveexec_b64 s[92:93], s[90:91]
	s_cbranch_execz .LBB2_884
	s_branch .LBB2_888
.LBB2_887:                              ;   in Loop: Header=BB2_885 Depth=3
	s_trap 2
	ds_read_b64 v[19:20], v0
	s_andn2_b64 s[90:91], s[90:91], exec
	s_mov_b32 s26, 0
	s_waitcnt lgkmcnt(0)
	flat_load_dword v0, v[19:20] glc
	s_waitcnt vmcnt(0) lgkmcnt(0)
	buffer_wbinvl1_vol
	v_cmp_eq_u32_e32 vcc, 0, v0
	s_and_b64 s[92:93], vcc, exec
	s_or_b64 s[90:91], s[90:91], s[92:93]
	s_mov_b64 s[94:95], -1
	s_or_b64 s[88:89], s[88:89], exec
	s_and_saveexec_b64 s[92:93], s[90:91]
	s_cbranch_execz .LBB2_884
.LBB2_888:                              ;   in Loop: Header=BB2_885 Depth=3
	s_sleep 1
	s_trap 2
	ds_read_b64 v[19:20], v0
	s_waitcnt lgkmcnt(0)
	s_andn2_b64 s[88:89], s[88:89], exec
	v_cmp_ge_u64_e32 vcc, v[19:20], v[40:41]
	s_orn2_b64 s[94:95], vcc, exec
	s_branch .LBB2_884
.LBB2_889:                              ;   in Loop: Header=BB2_305 Depth=2
	s_or_b64 exec, exec, s[76:77]
	s_and_saveexec_b64 s[76:77], s[78:79]
	s_xor_b64 s[76:77], exec, s[76:77]
	s_cbranch_execz .LBB2_891
; %bb.890:                              ;   in Loop: Header=BB2_305 Depth=2
	v_mov_b32_e32 v0, 1
	ds_write_b32 v0, v0
	s_trap 2
.LBB2_891:                              ;   in Loop: Header=BB2_305 Depth=2
	s_or_b64 exec, exec, s[74:75]
	;;#ASMSTART
	s_wakeup
	;;#ASMEND
.LBB2_892:                              ;   in Loop: Header=BB2_305 Depth=2
	s_or_b64 exec, exec, s[72:73]
.LBB2_893:                              ;   in Loop: Header=BB2_305 Depth=2
	s_andn2_saveexec_b64 s[62:63], s[62:63]
	s_cbranch_execz .LBB2_895
; %bb.894:                              ;   in Loop: Header=BB2_305 Depth=2
	s_waitcnt vmcnt(0) lgkmcnt(0)
	buffer_wbinvl1_vol
	s_barrier
.LBB2_895:                              ;   in Loop: Header=BB2_305 Depth=2
	s_or_b64 exec, exec, s[62:63]
	s_or_b64 exec, exec, s[18:19]
	s_and_saveexec_b64 s[18:19], s[14:15]
	s_cbranch_execnz .LBB2_343
	s_branch .LBB2_344
.LBB2_896:                              ;   in Loop: Header=BB2_32 Depth=1
	v_mov_b32_e32 v21, v46
	v_mov_b32_e32 v22, v47
	s_and_saveexec_b64 s[18:19], s[16:17]
	s_cbranch_execnz .LBB2_898
	s_branch .LBB2_1447
.LBB2_897:                              ;   in Loop: Header=BB2_32 Depth=1
	buffer_load_dword v23, off, s[0:3], s32 offset:196 ; 4-byte Folded Reload
	buffer_load_dword v24, off, s[0:3], s32 offset:200 ; 4-byte Folded Reload
	v_mov_b32_e32 v21, v46
	v_mov_b32_e32 v22, v47
	s_and_saveexec_b64 s[18:19], s[16:17]
	s_cbranch_execz .LBB2_1447
.LBB2_898:                              ;   in Loop: Header=BB2_32 Depth=1
	buffer_store_dword v43, off, s[0:3], s32 offset:68 ; 4-byte Folded Spill
	s_nop 0
	buffer_store_dword v44, off, s[0:3], s32 offset:72 ; 4-byte Folded Spill
	s_waitcnt lgkmcnt(0)
	flat_load_dword v0, v[60:61]
	buffer_load_dword v17, off, s[0:3], s32 offset:204 ; 4-byte Folded Reload
	buffer_load_dword v18, off, s[0:3], s32 offset:208 ; 4-byte Folded Reload
	;; [unrolled: 1-line block ×5, first 2 shown]
	v_add_u32_e32 v59, 1, v34
	s_mov_b64 s[62:63], 0
	s_waitcnt vmcnt(0) lgkmcnt(0)
	v_ashrrev_i32_e32 v2, 31, v0
	v_mov_b32_e32 v17, v19
	v_mov_b32_e32 v18, v20
	buffer_load_dword v19, off, s[0:3], s32 offset:88 ; 4-byte Folded Reload
	v_add_co_u32_e32 v17, vcc, v17, v23
	v_addc_co_u32_e32 v18, vcc, v18, v24, vcc
	v_mul_lo_u32 v10, v10, v0
	s_waitcnt vmcnt(0)
	v_mul_lo_u32 v2, v19, v2
	v_mad_u64_u32 v[17:18], s[16:17], v19, v0, v[17:18]
	v_add3_u32 v0, v10, v18, v2
	buffer_load_dword v2, off, s[0:3], s32 offset:152 ; 4-byte Folded Reload
	s_waitcnt vmcnt(0)
	v_add_co_u32_e32 v26, vcc, v17, v2
	v_addc_co_u32_e32 v42, vcc, 0, v0, vcc
	buffer_load_dword v0, off, s[0:3], s32 offset:228 ; 4-byte Folded Reload
	s_waitcnt vmcnt(0)
	v_add_co_u32_e32 v46, vcc, v0, v23
	buffer_load_dword v0, off, s[0:3], s32 offset:232 ; 4-byte Folded Reload
	buffer_load_dword v19, off, s[0:3], s32 offset:104 ; 4-byte Folded Reload
	;; [unrolled: 1-line block ×5, first 2 shown]
	s_waitcnt vmcnt(4)
	v_addc_co_u32_e32 v47, vcc, v0, v24, vcc
	v_and_b32_e32 v0, 7, v34
	v_mul_lo_u32 v17, v0, s36
	v_ashrrev_i32_e32 v18, 31, v17
	v_lshlrev_b64 v[17:18], 4, v[17:18]
	s_waitcnt vmcnt(3)
	v_add_co_u32_e32 v43, vcc, v19, v17
	s_waitcnt vmcnt(2)
	v_addc_co_u32_e32 v58, vcc, v20, v18, vcc
	s_branch .LBB2_900
.LBB2_899:                              ;   in Loop: Header=BB2_900 Depth=2
	v_add_co_u32_e32 v26, vcc, v26, v25
	v_addc_co_u32_e32 v42, vcc, 0, v42, vcc
	v_add_co_u32_e32 v46, vcc, v46, v25
	v_addc_co_u32_e32 v47, vcc, 0, v47, vcc
	v_sub_u32_e32 v4, v4, v25
	v_cmp_gt_i32_e32 vcc, 1, v4
	s_or_b64 s[62:63], vcc, s[62:63]
	v_add_u32_e32 v56, v56, v1
	s_andn2_b64 exec, exec, s[62:63]
	s_cbranch_execz .LBB2_1446
.LBB2_900:                              ;   Parent Loop BB2_32 Depth=1
                                        ; =>  This Loop Header: Depth=2
                                        ;       Child Loop BB2_908 Depth 3
	v_and_b32_e32 v17, -4, v26
	v_mov_b32_e32 v18, v42
	global_load_dword v0, v[17:18], off glc slc
	v_min_u32_e32 v2, 8, v4
	v_and_b32_e32 v10, 3, v26
	v_add_u32_e32 v2, v10, v2
	v_cmp_lt_u32_e32 vcc, 4, v2
	v_mov_b32_e32 v24, 0
	v_mov_b32_e32 v32, 0
	s_and_saveexec_b64 s[16:17], vcc
	s_cbranch_execz .LBB2_902
; %bb.901:                              ;   in Loop: Header=BB2_900 Depth=2
	global_load_dword v32, v[17:18], off offset:4 glc slc
.LBB2_902:                              ;   in Loop: Header=BB2_900 Depth=2
	s_or_b64 exec, exec, s[16:17]
	v_cmp_lt_u64_e32 vcc, 8, v[2:3]
	s_and_saveexec_b64 s[16:17], vcc
	s_cbranch_execz .LBB2_904
; %bb.903:                              ;   in Loop: Header=BB2_900 Depth=2
	global_load_dword v24, v[17:18], off offset:8 glc slc
.LBB2_904:                              ;   in Loop: Header=BB2_900 Depth=2
	s_or_b64 exec, exec, s[16:17]
	s_waitcnt vmcnt(0)
	v_mov_b32_e32 v57, v3
	v_lshlrev_b64 v[17:18], 4, v[56:57]
	v_add_co_u32_e32 v29, vcc, v43, v17
	v_addc_co_u32_e32 v30, vcc, v58, v18, vcc
	global_load_dwordx4 v[17:20], v[29:30], off glc slc
	v_cmp_eq_u32_e32 vcc, 0, v9
	v_mov_b32_e32 v9, 1
	s_and_saveexec_b64 s[72:73], vcc
	s_cbranch_execz .LBB2_916
; %bb.905:                              ;   in Loop: Header=BB2_900 Depth=2
	s_waitcnt vmcnt(0)
	v_cmp_ne_u32_e32 vcc, v59, v18
	v_cmp_ne_u32_e64 s[16:17], v59, v20
	s_or_b64 s[16:17], vcc, s[16:17]
	v_mov_b32_e32 v9, 0
	s_and_saveexec_b64 s[74:75], s[16:17]
	s_cbranch_execz .LBB2_915
; %bb.906:                              ;   in Loop: Header=BB2_900 Depth=2
	s_mov_b32 s26, 1
	s_mov_b64 s[78:79], 0
                                        ; implicit-def: $sgpr76_sgpr77
                                        ; implicit-def: $sgpr88_sgpr89
	s_branch .LBB2_908
.LBB2_907:                              ;   in Loop: Header=BB2_908 Depth=3
	s_or_b64 exec, exec, s[92:93]
	s_and_b64 s[16:17], exec, s[16:17]
	s_or_b64 s[78:79], s[16:17], s[78:79]
	s_andn2_b64 s[16:17], s[76:77], exec
	s_and_b64 s[76:77], s[88:89], exec
	s_or_b64 s[76:77], s[16:17], s[76:77]
	s_andn2_b64 exec, exec, s[78:79]
	s_cbranch_execz .LBB2_912
.LBB2_908:                              ;   Parent Loop BB2_32 Depth=1
                                        ;     Parent Loop BB2_900 Depth=2
                                        ; =>    This Inner Loop Header: Depth=3
	global_load_dwordx4 v[17:20], v[29:30], off glc slc
	s_add_i32 s26, s26, 1
	s_mov_b64 s[16:17], -1
	s_cmpk_lg_i32 s26, 0x2710
	s_mov_b64 s[90:91], -1
                                        ; implicit-def: $vgpr2
	s_cbranch_scc0 .LBB2_910
; %bb.909:                              ;   in Loop: Header=BB2_908 Depth=3
	s_or_b64 s[88:89], s[88:89], exec
	s_and_saveexec_b64 s[92:93], s[90:91]
	s_cbranch_execz .LBB2_907
	s_branch .LBB2_911
.LBB2_910:                              ;   in Loop: Header=BB2_908 Depth=3
	s_trap 2
	ds_read_b64 v[9:10], v0
	s_mov_b32 s26, 0
	s_waitcnt vmcnt(0) lgkmcnt(0)
	flat_load_dword v2, v[9:10] glc
	s_waitcnt vmcnt(0) lgkmcnt(0)
	buffer_wbinvl1_vol
	v_cmp_eq_u32_e32 vcc, 0, v2
	s_orn2_b64 s[90:91], vcc, exec
	s_or_b64 s[88:89], s[88:89], exec
	s_and_saveexec_b64 s[92:93], s[90:91]
	s_cbranch_execz .LBB2_907
.LBB2_911:                              ;   in Loop: Header=BB2_908 Depth=3
	s_waitcnt vmcnt(0)
	v_cmp_eq_u32_e32 vcc, v59, v18
	v_cmp_eq_u32_e64 s[16:17], v59, v20
	s_and_b64 s[16:17], vcc, s[16:17]
	s_andn2_b64 s[88:89], s[88:89], exec
	s_orn2_b64 s[16:17], s[16:17], exec
	s_branch .LBB2_907
.LBB2_912:                              ;   in Loop: Header=BB2_900 Depth=2
	s_or_b64 exec, exec, s[78:79]
	v_mov_b32_e32 v9, 0
	s_and_saveexec_b64 s[16:17], s[76:77]
	s_xor_b64 s[16:17], exec, s[16:17]
	s_cbranch_execz .LBB2_914
; %bb.913:                              ;   in Loop: Header=BB2_900 Depth=2
	v_mov_b32_e32 v9, 1
	ds_write_b32 v0, v2
	s_trap 2
.LBB2_914:                              ;   in Loop: Header=BB2_900 Depth=2
	s_or_b64 exec, exec, s[16:17]
.LBB2_915:                              ;   in Loop: Header=BB2_900 Depth=2
	s_or_b64 exec, exec, s[74:75]
.LBB2_916:                              ;   in Loop: Header=BB2_900 Depth=2
	s_or_b64 exec, exec, s[72:73]
	v_lshlrev_b32_e32 v30, 3, v26
	s_waitcnt vmcnt(0)
	v_alignbit_b32 v2, v32, v0, v30
	v_cmp_ne_u16_sdwa s[72:73], v2, v3 src0_sel:BYTE_0 src1_sel:DWORD
	v_mov_b32_e32 v0, 0
	s_and_saveexec_b64 s[16:17], s[72:73]
	s_cbranch_execz .LBB2_924
; %bb.917:                              ;   in Loop: Header=BB2_900 Depth=2
	v_cmp_ne_u16_sdwa s[74:75], sext(v2), s38 src0_sel:BYTE_0 src1_sel:DWORD
	v_bfrev_b32_e32 v0, 1
	s_and_saveexec_b64 s[72:73], s[74:75]
	s_cbranch_execz .LBB2_923
; %bb.918:                              ;   in Loop: Header=BB2_900 Depth=2
	v_and_b32_e32 v0, 0x7c, v2
	v_and_b32_e32 v10, 3, v2
	v_cmp_ne_u32_e32 vcc, s39, v0
                                        ; implicit-def: $vgpr0
	s_and_saveexec_b64 s[74:75], vcc
	s_xor_b64 s[74:75], exec, s[74:75]
	s_cbranch_execz .LBB2_920
; %bb.919:                              ;   in Loop: Header=BB2_900 Depth=2
	v_ffbh_u32_e32 v23, v10
	v_min_u32_e32 v23, 32, v23
	v_bfe_u32 v0, v2, 2, 5
	v_subrev_u32_e32 v27, 29, v23
	v_lshlrev_b64 v[27:28], v27, v[2:3]
	v_sub_u32_e32 v23, 30, v23
	v_cmp_eq_u32_e32 vcc, 0, v0
	v_cndmask_b32_e32 v0, v0, v23, vcc
	v_lshlrev_b32_e32 v23, 24, v2
	v_and_b32_e32 v27, 3, v27
	v_and_b32_e32 v23, 0x80000000, v23
	v_cndmask_b32_e32 v10, v10, v27, vcc
	v_lshl_add_u32 v0, v0, 23, v23
	v_lshl_or_b32 v0, v10, 21, v0
	v_add_u32_e32 v0, 0x38000000, v0
                                        ; implicit-def: $vgpr10
.LBB2_920:                              ;   in Loop: Header=BB2_900 Depth=2
	s_andn2_saveexec_b64 s[74:75], s[74:75]
; %bb.921:                              ;   in Loop: Header=BB2_900 Depth=2
	v_cmp_gt_i16_sdwa vcc, sext(v2), v7 src0_sel:BYTE_0 src1_sel:DWORD
	v_cndmask_b32_e32 v0, v8, v54, vcc
	v_cmp_eq_u32_e32 vcc, 0, v10
	v_cndmask_b32_e32 v0, v55, v0, vcc
; %bb.922:                              ;   in Loop: Header=BB2_900 Depth=2
	s_or_b64 exec, exec, s[74:75]
.LBB2_923:                              ;   in Loop: Header=BB2_900 Depth=2
	s_or_b64 exec, exec, s[72:73]
.LBB2_924:                              ;   in Loop: Header=BB2_900 Depth=2
	s_or_b64 exec, exec, s[16:17]
	v_mul_f32_e32 v23, v62, v0
	v_and_b32_e32 v28, 0x7f800000, v23
	v_mov_b32_e32 v29, v3
	v_cmp_ne_u64_e32 vcc, s[56:57], v[28:29]
	v_and_b32_e32 v27, 0x7fffff, v23
	v_mov_b32_e32 v28, v3
                                        ; implicit-def: $vgpr10
	s_and_saveexec_b64 s[16:17], vcc
	s_xor_b64 s[72:73], exec, s[16:17]
	s_cbranch_execz .LBB2_938
; %bb.925:                              ;   in Loop: Header=BB2_900 Depth=2
	v_and_b32_e32 v36, 0x7fffffff, v23
	v_mov_b32_e32 v37, v3
	v_cmp_gt_u64_e32 vcc, s[58:59], v[36:37]
	v_and_b32_sdwa v0, v23, s48 dst_sel:DWORD dst_unused:UNUSED_PAD src0_sel:BYTE_3 src1_sel:DWORD
                                        ; implicit-def: $vgpr10
	s_and_saveexec_b64 s[16:17], vcc
	s_xor_b64 s[74:75], exec, s[16:17]
	s_cbranch_execz .LBB2_935
; %bb.926:                              ;   in Loop: Header=BB2_900 Depth=2
	v_mov_b32_e32 v10, 0
	v_cmp_ne_u32_e32 vcc, 0, v23
	s_and_saveexec_b64 s[76:77], vcc
	s_cbranch_execz .LBB2_934
; %bb.927:                              ;   in Loop: Header=BB2_900 Depth=2
	v_bfe_u32 v10, v23, 23, 8
	v_cmp_gt_u32_e64 s[16:17], s49, v10
	v_sub_u32_e32 v23, 0x71, v10
	v_cmp_eq_u32_e32 vcc, 0, v10
	v_cndmask_b32_e64 v23, 0, v23, s[16:17]
	v_or_b32_e32 v29, 0x800000, v27
	v_cndmask_b32_e32 v23, v23, v12, vcc
	v_cndmask_b32_e32 v27, v29, v27, vcc
	v_add_u32_e32 v29, 21, v23
	v_lshlrev_b64 v[36:37], v29, -1
	v_add_u32_e32 v29, 20, v23
	v_bfi_b32 v36, v36, 0, v27
	v_lshlrev_b64 v[38:39], v29, 1
	v_lshrrev_b64 v[27:28], v23, v[27:28]
	v_bfi_b32 v37, v37, 0, 0
	v_cmp_eq_u64_e64 s[16:17], v[36:37], v[38:39]
	v_mov_b32_e32 v29, v28
	v_mov_b32_e32 v28, v27
	s_and_saveexec_b64 s[78:79], s[16:17]
; %bb.928:                              ;   in Loop: Header=BB2_900 Depth=2
	v_bfe_u32 v28, v27, 21, 1
	v_add_co_u32_e64 v28, s[16:17], v27, v28
	v_add_co_u32_e64 v28, s[16:17], -1, v28
; %bb.929:                              ;   in Loop: Header=BB2_900 Depth=2
	s_or_b64 exec, exec, s[78:79]
	v_add_u32_e32 v10, 0xffffff81, v10
	v_cndmask_b32_e32 v10, v10, v48, vcc
	v_lshrrev_b32_e32 v29, 23, v27
	v_add3_u32 v29, v23, v10, v29
	v_add_u32_e32 v23, 14, v29
	v_and_b32_e32 v10, 0x1fffff, v28
	v_add_u32_e32 v27, v10, v27
	v_mov_b32_e32 v28, v3
	v_cmp_ne_u32_e32 vcc, 0, v23
                                        ; implicit-def: $vgpr10
	s_and_saveexec_b64 s[16:17], vcc
	s_xor_b64 s[16:17], exec, s[16:17]
; %bb.930:                              ;   in Loop: Header=BB2_900 Depth=2
	v_cmp_lt_u64_e32 vcc, s[60:61], v[27:28]
	v_add_u32_e32 v10, 15, v29
	v_cndmask_b32_e32 v10, v23, v10, vcc
	v_cndmask_b32_e64 v23, 0, 1, vcc
	v_lshrrev_b64 v[27:28], v23, v[27:28]
; %bb.931:                              ;   in Loop: Header=BB2_900 Depth=2
	s_andn2_saveexec_b64 s[16:17], s[16:17]
; %bb.932:                              ;   in Loop: Header=BB2_900 Depth=2
	v_bfe_u32 v10, v27, 23, 1
; %bb.933:                              ;   in Loop: Header=BB2_900 Depth=2
	s_or_b64 exec, exec, s[16:17]
	v_lshrrev_b64 v[27:28], 21, v[27:28]
	v_cmp_gt_i32_e32 vcc, 32, v10
	v_cndmask_b32_e32 v28, 0, v28, vcc
	v_cndmask_b32_e32 v27, 3, v27, vcc
	v_cmp_eq_u32_e32 vcc, 0, v10
	v_min_i32_e32 v10, 31, v10
	v_cmp_eq_u64_e64 s[16:17], 0, v[27:28]
	v_lshlrev_b32_e32 v10, 2, v10
	v_and_b32_e32 v10, 0xfc, v10
	v_and_or_b32 v10, v27, 3, v10
	s_and_b64 s[16:17], vcc, s[16:17]
	v_cndmask_b32_e64 v10, v10, 0, s[16:17]
	v_or_b32_e32 v10, v10, v0
.LBB2_934:                              ;   in Loop: Header=BB2_900 Depth=2
	s_or_b64 exec, exec, s[76:77]
                                        ; implicit-def: $vgpr0
.LBB2_935:                              ;   in Loop: Header=BB2_900 Depth=2
	s_andn2_saveexec_b64 s[16:17], s[74:75]
; %bb.936:                              ;   in Loop: Header=BB2_900 Depth=2
	v_or_b32_e32 v10, 0x7b, v0
; %bb.937:                              ;   in Loop: Header=BB2_900 Depth=2
	s_or_b64 exec, exec, s[16:17]
                                        ; implicit-def: $vgpr23
                                        ; implicit-def: $vgpr27_vgpr28
.LBB2_938:                              ;   in Loop: Header=BB2_900 Depth=2
	s_andn2_saveexec_b64 s[16:17], s[72:73]
	s_cbranch_execz .LBB2_944
; %bb.939:                              ;   in Loop: Header=BB2_900 Depth=2
	v_cmp_ne_u64_e32 vcc, 0, v[27:28]
                                        ; implicit-def: $vgpr10
	s_and_saveexec_b64 s[72:73], vcc
	s_xor_b64 s[72:73], exec, s[72:73]
; %bb.940:                              ;   in Loop: Header=BB2_900 Depth=2
	v_or_b32_sdwa v10, v23, s50 dst_sel:DWORD dst_unused:UNUSED_PAD src0_sel:BYTE_3 src1_sel:DWORD
                                        ; implicit-def: $vgpr23
; %bb.941:                              ;   in Loop: Header=BB2_900 Depth=2
	s_andn2_saveexec_b64 s[72:73], s[72:73]
; %bb.942:                              ;   in Loop: Header=BB2_900 Depth=2
	v_cmp_lt_i32_e32 vcc, -1, v23
	v_cndmask_b32_e32 v10, v49, v11, vcc
; %bb.943:                              ;   in Loop: Header=BB2_900 Depth=2
	s_or_b64 exec, exec, s[72:73]
.LBB2_944:                              ;   in Loop: Header=BB2_900 Depth=2
	s_or_b64 exec, exec, s[16:17]
	v_lshrrev_b16_e32 v27, 8, v2
	v_cmp_ne_u16_e32 vcc, 0, v27
	v_mov_b32_e32 v0, 0
	s_and_saveexec_b64 s[16:17], vcc
	s_cbranch_execz .LBB2_952
; %bb.945:                              ;   in Loop: Header=BB2_900 Depth=2
	v_cmp_ne_u16_e32 vcc, s48, v27
	v_bfrev_b32_e32 v0, 1
	s_and_saveexec_b64 s[72:73], vcc
	s_cbranch_execz .LBB2_951
; %bb.946:                              ;   in Loop: Header=BB2_900 Depth=2
	v_and_b32_e32 v0, 0x7c, v27
	v_and_b32_e32 v23, 3, v27
	v_cmp_ne_u32_e32 vcc, s39, v0
                                        ; implicit-def: $vgpr0
	s_and_saveexec_b64 s[74:75], vcc
	s_xor_b64 s[74:75], exec, s[74:75]
	s_cbranch_execz .LBB2_948
; %bb.947:                              ;   in Loop: Header=BB2_900 Depth=2
	v_ffbh_u32_e32 v29, v23
	v_min_u32_e32 v29, 32, v29
	v_mov_b32_e32 v28, v3
	v_subrev_u32_e32 v31, 29, v29
	v_bfe_u32 v0, v27, 2, 5
	v_lshlrev_b64 v[27:28], v31, v[27:28]
	v_cmp_eq_u32_e32 vcc, 0, v0
	v_and_b32_e32 v27, 3, v27
	v_sub_u32_e32 v28, 30, v29
	v_cndmask_b32_e32 v23, v23, v27, vcc
	v_lshlrev_b32_e32 v27, 16, v2
	v_cndmask_b32_e32 v0, v0, v28, vcc
	v_and_b32_e32 v27, 0x80000000, v27
	v_lshl_add_u32 v0, v0, 23, v27
	v_lshl_or_b32 v0, v23, 21, v0
	v_add_u32_e32 v0, 0x38000000, v0
                                        ; implicit-def: $vgpr23
.LBB2_948:                              ;   in Loop: Header=BB2_900 Depth=2
	s_andn2_saveexec_b64 s[74:75], s[74:75]
; %bb.949:                              ;   in Loop: Header=BB2_900 Depth=2
	v_cmp_lt_i16_e32 vcc, -1, v2
	v_cndmask_b32_e32 v0, v8, v54, vcc
	v_cmp_eq_u32_e32 vcc, 0, v23
	v_cndmask_b32_e32 v0, v55, v0, vcc
; %bb.950:                              ;   in Loop: Header=BB2_900 Depth=2
	s_or_b64 exec, exec, s[74:75]
.LBB2_951:                              ;   in Loop: Header=BB2_900 Depth=2
	s_or_b64 exec, exec, s[72:73]
.LBB2_952:                              ;   in Loop: Header=BB2_900 Depth=2
	s_or_b64 exec, exec, s[16:17]
	v_mul_f32_e32 v29, v62, v0
	v_and_b32_e32 v36, 0x7f800000, v29
	v_mov_b32_e32 v37, v3
	v_cmp_ne_u64_e32 vcc, s[56:57], v[36:37]
	v_and_b32_e32 v27, 0x7fffff, v29
	v_mov_b32_e32 v28, v3
                                        ; implicit-def: $vgpr23
	s_and_saveexec_b64 s[16:17], vcc
	s_xor_b64 s[72:73], exec, s[16:17]
	s_cbranch_execz .LBB2_966
; %bb.953:                              ;   in Loop: Header=BB2_900 Depth=2
	v_and_b32_e32 v36, 0x7fffffff, v29
	v_mov_b32_e32 v37, v3
	v_cmp_gt_u64_e32 vcc, s[58:59], v[36:37]
	v_and_b32_sdwa v0, v29, s48 dst_sel:DWORD dst_unused:UNUSED_PAD src0_sel:BYTE_3 src1_sel:DWORD
                                        ; implicit-def: $vgpr23
	s_and_saveexec_b64 s[16:17], vcc
	s_xor_b64 s[74:75], exec, s[16:17]
	s_cbranch_execz .LBB2_963
; %bb.954:                              ;   in Loop: Header=BB2_900 Depth=2
	v_mov_b32_e32 v23, 0
	v_cmp_ne_u32_e32 vcc, 0, v29
	s_and_saveexec_b64 s[76:77], vcc
	s_cbranch_execz .LBB2_962
; %bb.955:                              ;   in Loop: Header=BB2_900 Depth=2
	v_bfe_u32 v23, v29, 23, 8
	v_cmp_gt_u32_e64 s[16:17], s49, v23
	v_sub_u32_e32 v29, 0x71, v23
	v_cmp_eq_u32_e32 vcc, 0, v23
	v_cndmask_b32_e64 v29, 0, v29, s[16:17]
	v_cndmask_b32_e32 v31, v29, v12, vcc
	v_add_u32_e32 v29, 21, v31
	v_or_b32_e32 v33, 0x800000, v27
	v_lshlrev_b64 v[36:37], v29, -1
	v_cndmask_b32_e32 v27, v33, v27, vcc
	v_add_u32_e32 v29, 20, v31
	v_bfi_b32 v36, v36, 0, v27
	v_lshlrev_b64 v[38:39], v29, 1
	v_lshrrev_b64 v[27:28], v31, v[27:28]
	v_bfi_b32 v37, v37, 0, 0
	v_cmp_eq_u64_e64 s[16:17], v[36:37], v[38:39]
	v_mov_b32_e32 v29, v28
	v_mov_b32_e32 v28, v27
	s_and_saveexec_b64 s[78:79], s[16:17]
; %bb.956:                              ;   in Loop: Header=BB2_900 Depth=2
	v_bfe_u32 v28, v27, 21, 1
	v_add_co_u32_e64 v28, s[16:17], v27, v28
	v_add_co_u32_e64 v28, s[16:17], -1, v28
; %bb.957:                              ;   in Loop: Header=BB2_900 Depth=2
	s_or_b64 exec, exec, s[78:79]
	v_add_u32_e32 v23, 0xffffff81, v23
	v_cndmask_b32_e32 v23, v23, v48, vcc
	v_lshrrev_b32_e32 v29, 23, v27
	v_add3_u32 v31, v31, v23, v29
	v_add_u32_e32 v29, 14, v31
	v_and_b32_e32 v23, 0x1fffff, v28
	v_add_u32_e32 v27, v23, v27
	v_mov_b32_e32 v28, v3
	v_cmp_ne_u32_e32 vcc, 0, v29
                                        ; implicit-def: $vgpr23
	s_and_saveexec_b64 s[16:17], vcc
	s_xor_b64 s[16:17], exec, s[16:17]
; %bb.958:                              ;   in Loop: Header=BB2_900 Depth=2
	v_cmp_lt_u64_e32 vcc, s[60:61], v[27:28]
	v_add_u32_e32 v23, 15, v31
	v_cndmask_b32_e32 v23, v29, v23, vcc
	v_cndmask_b32_e64 v29, 0, 1, vcc
	v_lshrrev_b64 v[27:28], v29, v[27:28]
; %bb.959:                              ;   in Loop: Header=BB2_900 Depth=2
	s_andn2_saveexec_b64 s[16:17], s[16:17]
; %bb.960:                              ;   in Loop: Header=BB2_900 Depth=2
	v_bfe_u32 v23, v27, 23, 1
; %bb.961:                              ;   in Loop: Header=BB2_900 Depth=2
	s_or_b64 exec, exec, s[16:17]
	v_lshrrev_b64 v[27:28], 21, v[27:28]
	v_cmp_gt_i32_e32 vcc, 32, v23
	v_cndmask_b32_e32 v28, 0, v28, vcc
	v_cndmask_b32_e32 v27, 3, v27, vcc
	v_cmp_eq_u32_e32 vcc, 0, v23
	v_min_i32_e32 v23, 31, v23
	v_cmp_eq_u64_e64 s[16:17], 0, v[27:28]
	v_lshlrev_b32_e32 v23, 2, v23
	v_and_b32_e32 v23, 0xfc, v23
	v_and_or_b32 v23, v27, 3, v23
	s_and_b64 s[16:17], vcc, s[16:17]
	v_cndmask_b32_e64 v23, v23, 0, s[16:17]
	v_or_b32_e32 v23, v23, v0
.LBB2_962:                              ;   in Loop: Header=BB2_900 Depth=2
	s_or_b64 exec, exec, s[76:77]
                                        ; implicit-def: $vgpr0
.LBB2_963:                              ;   in Loop: Header=BB2_900 Depth=2
	s_andn2_saveexec_b64 s[16:17], s[74:75]
; %bb.964:                              ;   in Loop: Header=BB2_900 Depth=2
	v_or_b32_e32 v23, 0x7b, v0
; %bb.965:                              ;   in Loop: Header=BB2_900 Depth=2
	s_or_b64 exec, exec, s[16:17]
                                        ; implicit-def: $vgpr29
                                        ; implicit-def: $vgpr27_vgpr28
.LBB2_966:                              ;   in Loop: Header=BB2_900 Depth=2
	s_andn2_saveexec_b64 s[16:17], s[72:73]
	s_cbranch_execz .LBB2_972
; %bb.967:                              ;   in Loop: Header=BB2_900 Depth=2
	v_cmp_ne_u64_e32 vcc, 0, v[27:28]
                                        ; implicit-def: $vgpr23
	s_and_saveexec_b64 s[72:73], vcc
	s_xor_b64 s[72:73], exec, s[72:73]
; %bb.968:                              ;   in Loop: Header=BB2_900 Depth=2
	v_or_b32_sdwa v23, v29, s50 dst_sel:DWORD dst_unused:UNUSED_PAD src0_sel:BYTE_3 src1_sel:DWORD
                                        ; implicit-def: $vgpr29
; %bb.969:                              ;   in Loop: Header=BB2_900 Depth=2
	s_andn2_saveexec_b64 s[72:73], s[72:73]
; %bb.970:                              ;   in Loop: Header=BB2_900 Depth=2
	v_cmp_lt_i32_e32 vcc, -1, v29
	v_cndmask_b32_e32 v23, v49, v11, vcc
; %bb.971:                              ;   in Loop: Header=BB2_900 Depth=2
	s_or_b64 exec, exec, s[72:73]
.LBB2_972:                              ;   in Loop: Header=BB2_900 Depth=2
	s_or_b64 exec, exec, s[16:17]
	v_and_b32_sdwa v28, v2, s37 dst_sel:DWORD dst_unused:UNUSED_PAD src0_sel:WORD_1 src1_sel:DWORD
	v_lshrrev_b32_e32 v27, 16, v2
	v_cmp_ne_u16_e32 vcc, 0, v28
	v_mov_b32_e32 v0, 0
	s_and_saveexec_b64 s[16:17], vcc
	s_cbranch_execz .LBB2_980
; %bb.973:                              ;   in Loop: Header=BB2_900 Depth=2
	v_cmp_ne_u16_e32 vcc, s48, v28
	v_bfrev_b32_e32 v0, 1
	s_and_saveexec_b64 s[72:73], vcc
	s_cbranch_execz .LBB2_979
; %bb.974:                              ;   in Loop: Header=BB2_900 Depth=2
	v_and_b32_e32 v0, 0x7c0000, v2
	v_bfe_u32 v28, v2, 16, 2
	v_cmp_ne_u32_e32 vcc, s51, v0
                                        ; implicit-def: $vgpr0
	s_and_saveexec_b64 s[74:75], vcc
	s_xor_b64 s[74:75], exec, s[74:75]
	s_cbranch_execz .LBB2_976
; %bb.975:                              ;   in Loop: Header=BB2_900 Depth=2
	v_ffbh_u32_e32 v29, v28
	v_min_u32_e32 v29, 32, v29
	v_lshrrev_b32_e32 v0, 16, v2
	v_subrev_u32_e32 v31, 29, v29
	v_lshlrev_b64 v[36:37], v31, v[0:1]
	v_bfe_u32 v27, v2, 18, 5
	v_sub_u32_e32 v0, 30, v29
	v_and_b32_e32 v29, 3, v36
	v_cmp_eq_u32_e32 vcc, 0, v27
	v_cndmask_b32_e32 v0, v27, v0, vcc
	v_cndmask_b32_e32 v27, v28, v29, vcc
	v_lshlrev_b32_e32 v28, 8, v2
	v_and_b32_e32 v28, 0x80000000, v28
	v_lshl_add_u32 v0, v0, 23, v28
	v_lshl_or_b32 v0, v27, 21, v0
	v_add_u32_e32 v0, 0x38000000, v0
                                        ; implicit-def: $vgpr28
                                        ; implicit-def: $vgpr27
.LBB2_976:                              ;   in Loop: Header=BB2_900 Depth=2
	s_andn2_saveexec_b64 s[74:75], s[74:75]
; %bb.977:                              ;   in Loop: Header=BB2_900 Depth=2
	v_cmp_gt_i16_sdwa vcc, sext(v27), v7 src0_sel:BYTE_0 src1_sel:DWORD
	v_cndmask_b32_e32 v0, v8, v54, vcc
	v_cmp_eq_u32_e32 vcc, 0, v28
	v_cndmask_b32_e32 v0, v55, v0, vcc
; %bb.978:                              ;   in Loop: Header=BB2_900 Depth=2
	s_or_b64 exec, exec, s[74:75]
.LBB2_979:                              ;   in Loop: Header=BB2_900 Depth=2
	s_or_b64 exec, exec, s[72:73]
.LBB2_980:                              ;   in Loop: Header=BB2_900 Depth=2
	s_or_b64 exec, exec, s[16:17]
	v_mul_f32_e32 v29, v62, v0
	v_and_b32_e32 v36, 0x7f800000, v29
	v_mov_b32_e32 v37, v3
	v_cmp_ne_u64_e32 vcc, s[56:57], v[36:37]
	v_and_b32_e32 v27, 0x7fffff, v29
	v_mov_b32_e32 v28, v3
                                        ; implicit-def: $vgpr31
	s_and_saveexec_b64 s[16:17], vcc
	s_xor_b64 s[72:73], exec, s[16:17]
	s_cbranch_execz .LBB2_994
; %bb.981:                              ;   in Loop: Header=BB2_900 Depth=2
	v_and_b32_e32 v36, 0x7fffffff, v29
	v_mov_b32_e32 v37, v3
	v_cmp_gt_u64_e32 vcc, s[58:59], v[36:37]
	v_and_b32_sdwa v0, v29, s48 dst_sel:DWORD dst_unused:UNUSED_PAD src0_sel:BYTE_3 src1_sel:DWORD
                                        ; implicit-def: $vgpr31
	s_and_saveexec_b64 s[16:17], vcc
	s_xor_b64 s[74:75], exec, s[16:17]
	s_cbranch_execz .LBB2_991
; %bb.982:                              ;   in Loop: Header=BB2_900 Depth=2
	v_mov_b32_e32 v31, 0
	v_cmp_ne_u32_e32 vcc, 0, v29
	s_and_saveexec_b64 s[76:77], vcc
	s_cbranch_execz .LBB2_990
; %bb.983:                              ;   in Loop: Header=BB2_900 Depth=2
	v_bfe_u32 v31, v29, 23, 8
	v_cmp_gt_u32_e64 s[16:17], s49, v31
	v_sub_u32_e32 v29, 0x71, v31
	v_cmp_eq_u32_e32 vcc, 0, v31
	v_cndmask_b32_e64 v29, 0, v29, s[16:17]
	v_cndmask_b32_e32 v33, v29, v12, vcc
	v_or_b32_e32 v36, 0x800000, v27
	v_add_u32_e32 v29, 21, v33
	v_cndmask_b32_e32 v27, v36, v27, vcc
	v_lshlrev_b64 v[36:37], v29, -1
	v_add_u32_e32 v29, 20, v33
	v_bfi_b32 v36, v36, 0, v27
	v_lshlrev_b64 v[38:39], v29, 1
	v_lshrrev_b64 v[27:28], v33, v[27:28]
	v_bfi_b32 v37, v37, 0, 0
	v_cmp_eq_u64_e64 s[16:17], v[36:37], v[38:39]
	v_mov_b32_e32 v29, v28
	v_mov_b32_e32 v28, v27
	s_and_saveexec_b64 s[78:79], s[16:17]
; %bb.984:                              ;   in Loop: Header=BB2_900 Depth=2
	v_bfe_u32 v28, v27, 21, 1
	v_add_co_u32_e64 v28, s[16:17], v27, v28
	v_add_co_u32_e64 v28, s[16:17], -1, v28
; %bb.985:                              ;   in Loop: Header=BB2_900 Depth=2
	s_or_b64 exec, exec, s[78:79]
	v_add_u32_e32 v29, 0xffffff81, v31
	v_cndmask_b32_e32 v29, v29, v48, vcc
	v_lshrrev_b32_e32 v31, 23, v27
	v_add3_u32 v33, v33, v29, v31
	v_add_u32_e32 v31, 14, v33
	v_and_b32_e32 v28, 0x1fffff, v28
	v_add_u32_e32 v27, v28, v27
	v_mov_b32_e32 v28, v3
	v_cmp_ne_u32_e32 vcc, 0, v31
                                        ; implicit-def: $vgpr29
	s_and_saveexec_b64 s[16:17], vcc
	s_xor_b64 s[16:17], exec, s[16:17]
; %bb.986:                              ;   in Loop: Header=BB2_900 Depth=2
	v_cmp_lt_u64_e32 vcc, s[60:61], v[27:28]
	v_add_u32_e32 v29, 15, v33
	v_cndmask_b32_e32 v29, v31, v29, vcc
	v_cndmask_b32_e64 v31, 0, 1, vcc
	v_lshrrev_b64 v[27:28], v31, v[27:28]
; %bb.987:                              ;   in Loop: Header=BB2_900 Depth=2
	s_andn2_saveexec_b64 s[16:17], s[16:17]
; %bb.988:                              ;   in Loop: Header=BB2_900 Depth=2
	v_bfe_u32 v29, v27, 23, 1
; %bb.989:                              ;   in Loop: Header=BB2_900 Depth=2
	s_or_b64 exec, exec, s[16:17]
	v_lshrrev_b64 v[27:28], 21, v[27:28]
	v_cmp_gt_i32_e32 vcc, 32, v29
	v_cndmask_b32_e32 v28, 0, v28, vcc
	v_cndmask_b32_e32 v27, 3, v27, vcc
	v_cmp_eq_u64_e64 s[16:17], 0, v[27:28]
	v_min_i32_e32 v28, 31, v29
	v_lshlrev_b32_e32 v28, 2, v28
	v_cmp_eq_u32_e32 vcc, 0, v29
	v_and_b32_e32 v28, 0xfc, v28
	v_and_or_b32 v27, v27, 3, v28
	s_and_b64 s[16:17], vcc, s[16:17]
	v_cndmask_b32_e64 v27, v27, 0, s[16:17]
	v_or_b32_e32 v31, v27, v0
.LBB2_990:                              ;   in Loop: Header=BB2_900 Depth=2
	s_or_b64 exec, exec, s[76:77]
                                        ; implicit-def: $vgpr0
.LBB2_991:                              ;   in Loop: Header=BB2_900 Depth=2
	s_andn2_saveexec_b64 s[16:17], s[74:75]
; %bb.992:                              ;   in Loop: Header=BB2_900 Depth=2
	v_or_b32_e32 v31, 0x7b, v0
; %bb.993:                              ;   in Loop: Header=BB2_900 Depth=2
	s_or_b64 exec, exec, s[16:17]
                                        ; implicit-def: $vgpr29
                                        ; implicit-def: $vgpr27_vgpr28
.LBB2_994:                              ;   in Loop: Header=BB2_900 Depth=2
	s_andn2_saveexec_b64 s[16:17], s[72:73]
	s_cbranch_execz .LBB2_1000
; %bb.995:                              ;   in Loop: Header=BB2_900 Depth=2
	v_cmp_ne_u64_e32 vcc, 0, v[27:28]
                                        ; implicit-def: $vgpr31
	s_and_saveexec_b64 s[72:73], vcc
	s_xor_b64 s[72:73], exec, s[72:73]
; %bb.996:                              ;   in Loop: Header=BB2_900 Depth=2
	v_or_b32_sdwa v31, v29, s50 dst_sel:DWORD dst_unused:UNUSED_PAD src0_sel:BYTE_3 src1_sel:DWORD
                                        ; implicit-def: $vgpr29
; %bb.997:                              ;   in Loop: Header=BB2_900 Depth=2
	s_andn2_saveexec_b64 s[72:73], s[72:73]
; %bb.998:                              ;   in Loop: Header=BB2_900 Depth=2
	v_cmp_lt_i32_e32 vcc, -1, v29
	v_cndmask_b32_e32 v31, v49, v11, vcc
; %bb.999:                              ;   in Loop: Header=BB2_900 Depth=2
	s_or_b64 exec, exec, s[72:73]
.LBB2_1000:                             ;   in Loop: Header=BB2_900 Depth=2
	s_or_b64 exec, exec, s[16:17]
	v_cmp_lt_u32_e32 vcc, s47, v2
	v_mov_b32_e32 v27, 0
	s_and_saveexec_b64 s[16:17], vcc
	s_cbranch_execz .LBB2_1008
; %bb.1001:                             ;   in Loop: Header=BB2_900 Depth=2
	v_lshrrev_b32_e32 v0, 24, v2
	v_cmp_ne_u32_e32 vcc, s48, v0
	v_bfrev_b32_e32 v27, 1
	s_and_saveexec_b64 s[72:73], vcc
	s_cbranch_execz .LBB2_1007
; %bb.1002:                             ;   in Loop: Header=BB2_900 Depth=2
	v_and_b32_e32 v27, 0x7c000000, v2
	v_bfe_u32 v28, v2, 24, 2
	v_cmp_ne_u32_e32 vcc, s52, v27
                                        ; implicit-def: $vgpr27
	s_and_saveexec_b64 s[74:75], vcc
	s_xor_b64 s[74:75], exec, s[74:75]
	s_cbranch_execz .LBB2_1004
; %bb.1003:                             ;   in Loop: Header=BB2_900 Depth=2
	v_ffbh_u32_e32 v29, v28
	v_min_u32_e32 v29, 32, v29
	v_subrev_u32_e32 v33, 29, v29
	v_bfe_u32 v27, v2, 26, 5
	v_lshlrev_b64 v[36:37], v33, v[0:1]
	v_sub_u32_e32 v0, 30, v29
	v_cmp_eq_u32_e32 vcc, 0, v27
	v_and_b32_e32 v29, 3, v36
	v_cndmask_b32_e32 v0, v27, v0, vcc
	v_and_b32_e32 v2, 0x80000000, v2
	v_cndmask_b32_e32 v27, v28, v29, vcc
	v_lshl_add_u32 v0, v0, 23, v2
	v_lshl_or_b32 v0, v27, 21, v0
	v_add_u32_e32 v27, 0x38000000, v0
                                        ; implicit-def: $vgpr28
.LBB2_1004:                             ;   in Loop: Header=BB2_900 Depth=2
	s_andn2_saveexec_b64 s[74:75], s[74:75]
; %bb.1005:                             ;   in Loop: Header=BB2_900 Depth=2
	v_cmp_lt_i32_e32 vcc, -1, v2
	v_cndmask_b32_e32 v0, v8, v54, vcc
	v_cmp_eq_u32_e32 vcc, 0, v28
	v_cndmask_b32_e32 v27, v55, v0, vcc
; %bb.1006:                             ;   in Loop: Header=BB2_900 Depth=2
	s_or_b64 exec, exec, s[74:75]
.LBB2_1007:                             ;   in Loop: Header=BB2_900 Depth=2
	s_or_b64 exec, exec, s[72:73]
.LBB2_1008:                             ;   in Loop: Header=BB2_900 Depth=2
	s_or_b64 exec, exec, s[16:17]
	v_mul_f32_e32 v27, v62, v27
	v_and_b32_e32 v28, 0x7f800000, v27
	v_mov_b32_e32 v29, v3
	v_cmp_ne_u64_e32 vcc, s[56:57], v[28:29]
	v_and_b32_e32 v2, 0x7fffff, v27
                                        ; implicit-def: $vgpr36
	s_and_saveexec_b64 s[16:17], vcc
	s_xor_b64 s[72:73], exec, s[16:17]
	s_cbranch_execz .LBB2_1022
; %bb.1009:                             ;   in Loop: Header=BB2_900 Depth=2
	v_and_b32_e32 v28, 0x7fffffff, v27
	v_mov_b32_e32 v29, v3
	v_cmp_gt_u64_e32 vcc, s[58:59], v[28:29]
	v_and_b32_sdwa v0, v27, s48 dst_sel:DWORD dst_unused:UNUSED_PAD src0_sel:BYTE_3 src1_sel:DWORD
                                        ; implicit-def: $vgpr36
	s_and_saveexec_b64 s[16:17], vcc
	s_xor_b64 s[74:75], exec, s[16:17]
	s_cbranch_execz .LBB2_1019
; %bb.1010:                             ;   in Loop: Header=BB2_900 Depth=2
	v_mov_b32_e32 v36, 0
	v_cmp_ne_u32_e32 vcc, 0, v27
	s_and_saveexec_b64 s[76:77], vcc
	s_cbranch_execz .LBB2_1018
; %bb.1011:                             ;   in Loop: Header=BB2_900 Depth=2
	v_bfe_u32 v33, v27, 23, 8
	v_cmp_gt_u32_e64 s[16:17], s49, v33
	v_sub_u32_e32 v27, 0x71, v33
	v_cmp_eq_u32_e32 vcc, 0, v33
	v_cndmask_b32_e64 v27, 0, v27, s[16:17]
	v_cndmask_b32_e32 v36, v27, v12, vcc
	v_or_b32_e32 v28, 0x800000, v2
	v_add_u32_e32 v27, 21, v36
	v_cndmask_b32_e32 v2, v28, v2, vcc
	v_lshlrev_b64 v[27:28], v27, -1
	v_add_u32_e32 v29, 20, v36
	v_lshlrev_b64 v[37:38], v29, 1
	v_bfi_b32 v28, v28, 0, 0
	v_bfi_b32 v27, v27, 0, v2
	v_cmp_eq_u64_e64 s[16:17], v[27:28], v[37:38]
	v_lshrrev_b64 v[27:28], v36, v[2:3]
	v_mov_b32_e32 v29, v28
	v_mov_b32_e32 v28, v27
	s_and_saveexec_b64 s[78:79], s[16:17]
; %bb.1012:                             ;   in Loop: Header=BB2_900 Depth=2
	v_bfe_u32 v2, v27, 21, 1
	v_add_co_u32_e64 v2, s[16:17], v27, v2
	v_add_co_u32_e64 v28, s[16:17], -1, v2
; %bb.1013:                             ;   in Loop: Header=BB2_900 Depth=2
	s_or_b64 exec, exec, s[78:79]
	v_add_u32_e32 v2, 0xffffff81, v33
	v_cndmask_b32_e32 v2, v2, v48, vcc
	v_lshrrev_b32_e32 v29, 23, v27
	v_add3_u32 v36, v36, v2, v29
	v_add_u32_e32 v33, 14, v36
	v_and_b32_e32 v2, 0x1fffff, v28
	v_add_u32_e32 v2, v2, v27
	v_cmp_ne_u32_e32 vcc, 0, v33
                                        ; implicit-def: $vgpr27_vgpr28
                                        ; implicit-def: $vgpr29
	s_and_saveexec_b64 s[16:17], vcc
	s_xor_b64 s[16:17], exec, s[16:17]
; %bb.1014:                             ;   in Loop: Header=BB2_900 Depth=2
	v_cmp_lt_u64_e32 vcc, s[60:61], v[2:3]
	v_add_u32_e32 v27, 15, v36
	v_cndmask_b32_e32 v29, v33, v27, vcc
	v_cndmask_b32_e64 v27, 0, 1, vcc
	v_lshrrev_b64 v[27:28], v27, v[2:3]
; %bb.1015:                             ;   in Loop: Header=BB2_900 Depth=2
	s_andn2_saveexec_b64 s[16:17], s[16:17]
; %bb.1016:                             ;   in Loop: Header=BB2_900 Depth=2
	v_mov_b32_e32 v28, v3
	v_bfe_u32 v29, v2, 23, 1
	v_mov_b32_e32 v27, v2
; %bb.1017:                             ;   in Loop: Header=BB2_900 Depth=2
	s_or_b64 exec, exec, s[16:17]
	v_lshrrev_b64 v[27:28], 21, v[27:28]
	v_cmp_gt_i32_e32 vcc, 32, v29
	v_cndmask_b32_e32 v28, 0, v28, vcc
	v_cndmask_b32_e32 v27, 3, v27, vcc
	v_min_i32_e32 v2, 31, v29
	v_cmp_eq_u64_e64 s[16:17], 0, v[27:28]
	v_lshlrev_b32_e32 v2, 2, v2
	v_cmp_eq_u32_e32 vcc, 0, v29
	v_and_b32_e32 v2, 0xfc, v2
	v_and_or_b32 v2, v27, 3, v2
	s_and_b64 s[16:17], vcc, s[16:17]
	v_cndmask_b32_e64 v2, v2, 0, s[16:17]
	v_or_b32_e32 v36, v2, v0
.LBB2_1018:                             ;   in Loop: Header=BB2_900 Depth=2
	s_or_b64 exec, exec, s[76:77]
                                        ; implicit-def: $vgpr0
.LBB2_1019:                             ;   in Loop: Header=BB2_900 Depth=2
	s_andn2_saveexec_b64 s[16:17], s[74:75]
; %bb.1020:                             ;   in Loop: Header=BB2_900 Depth=2
	v_or_b32_e32 v36, 0x7b, v0
; %bb.1021:                             ;   in Loop: Header=BB2_900 Depth=2
	s_or_b64 exec, exec, s[16:17]
                                        ; implicit-def: $vgpr27
.LBB2_1022:                             ;   in Loop: Header=BB2_900 Depth=2
	s_andn2_saveexec_b64 s[16:17], s[72:73]
	s_cbranch_execz .LBB2_1028
; %bb.1023:                             ;   in Loop: Header=BB2_900 Depth=2
	v_cmp_ne_u64_e32 vcc, 0, v[2:3]
                                        ; implicit-def: $vgpr36
	s_and_saveexec_b64 s[72:73], vcc
	s_xor_b64 s[72:73], exec, s[72:73]
; %bb.1024:                             ;   in Loop: Header=BB2_900 Depth=2
	v_or_b32_sdwa v36, v27, s50 dst_sel:DWORD dst_unused:UNUSED_PAD src0_sel:BYTE_3 src1_sel:DWORD
                                        ; implicit-def: $vgpr27
; %bb.1025:                             ;   in Loop: Header=BB2_900 Depth=2
	s_andn2_saveexec_b64 s[72:73], s[72:73]
; %bb.1026:                             ;   in Loop: Header=BB2_900 Depth=2
	v_cmp_lt_i32_e32 vcc, -1, v27
	v_cndmask_b32_e32 v36, v49, v11, vcc
; %bb.1027:                             ;   in Loop: Header=BB2_900 Depth=2
	s_or_b64 exec, exec, s[72:73]
.LBB2_1028:                             ;   in Loop: Header=BB2_900 Depth=2
	s_or_b64 exec, exec, s[16:17]
	v_alignbit_b32 v2, v24, v32, v30
	v_cmp_ne_u16_sdwa s[72:73], v2, v3 src0_sel:BYTE_0 src1_sel:DWORD
	v_mov_b32_e32 v0, 0
	s_and_saveexec_b64 s[16:17], s[72:73]
	s_cbranch_execz .LBB2_1036
; %bb.1029:                             ;   in Loop: Header=BB2_900 Depth=2
	v_cmp_ne_u16_sdwa s[74:75], sext(v2), s38 src0_sel:BYTE_0 src1_sel:DWORD
	v_bfrev_b32_e32 v0, 1
	s_and_saveexec_b64 s[72:73], s[74:75]
	s_cbranch_execz .LBB2_1035
; %bb.1030:                             ;   in Loop: Header=BB2_900 Depth=2
	v_and_b32_e32 v0, 0x7c, v2
	v_and_b32_e32 v24, 3, v2
	v_cmp_ne_u32_e32 vcc, s39, v0
                                        ; implicit-def: $vgpr0
	s_and_saveexec_b64 s[74:75], vcc
	s_xor_b64 s[74:75], exec, s[74:75]
	s_cbranch_execz .LBB2_1032
; %bb.1031:                             ;   in Loop: Header=BB2_900 Depth=2
	v_ffbh_u32_e32 v27, v24
	v_min_u32_e32 v29, 32, v27
	v_subrev_u32_e32 v27, 29, v29
	v_lshlrev_b64 v[27:28], v27, v[2:3]
	v_bfe_u32 v0, v2, 2, 5
	v_and_b32_e32 v27, 3, v27
	v_cmp_eq_u32_e32 vcc, 0, v0
	v_sub_u32_e32 v28, 30, v29
	v_cndmask_b32_e32 v24, v24, v27, vcc
	v_lshlrev_b32_e32 v27, 24, v2
	v_cndmask_b32_e32 v0, v0, v28, vcc
	v_and_b32_e32 v27, 0x80000000, v27
	v_lshl_add_u32 v0, v0, 23, v27
	v_lshl_or_b32 v0, v24, 21, v0
	v_add_u32_e32 v0, 0x38000000, v0
                                        ; implicit-def: $vgpr24
.LBB2_1032:                             ;   in Loop: Header=BB2_900 Depth=2
	s_andn2_saveexec_b64 s[74:75], s[74:75]
; %bb.1033:                             ;   in Loop: Header=BB2_900 Depth=2
	v_cmp_gt_i16_sdwa vcc, sext(v2), v7 src0_sel:BYTE_0 src1_sel:DWORD
	v_cndmask_b32_e32 v0, v8, v54, vcc
	v_cmp_eq_u32_e32 vcc, 0, v24
	v_cndmask_b32_e32 v0, v55, v0, vcc
; %bb.1034:                             ;   in Loop: Header=BB2_900 Depth=2
	s_or_b64 exec, exec, s[74:75]
.LBB2_1035:                             ;   in Loop: Header=BB2_900 Depth=2
	s_or_b64 exec, exec, s[72:73]
.LBB2_1036:                             ;   in Loop: Header=BB2_900 Depth=2
	s_or_b64 exec, exec, s[16:17]
	v_mul_f32_e32 v24, v62, v0
	v_and_b32_e32 v28, 0x7f800000, v24
	v_mov_b32_e32 v29, v3
	v_cmp_ne_u64_e32 vcc, s[56:57], v[28:29]
	v_and_b32_e32 v27, 0x7fffff, v24
	v_mov_b32_e32 v28, v3
                                        ; implicit-def: $vgpr30
	s_and_saveexec_b64 s[16:17], vcc
	s_xor_b64 s[72:73], exec, s[16:17]
	s_cbranch_execz .LBB2_1050
; %bb.1037:                             ;   in Loop: Header=BB2_900 Depth=2
	v_and_b32_e32 v29, 0x7fffffff, v24
	v_mov_b32_e32 v30, v3
	v_cmp_gt_u64_e32 vcc, s[58:59], v[29:30]
	v_and_b32_sdwa v0, v24, s48 dst_sel:DWORD dst_unused:UNUSED_PAD src0_sel:BYTE_3 src1_sel:DWORD
                                        ; implicit-def: $vgpr30
	s_and_saveexec_b64 s[16:17], vcc
	s_xor_b64 s[74:75], exec, s[16:17]
	s_cbranch_execz .LBB2_1047
; %bb.1038:                             ;   in Loop: Header=BB2_900 Depth=2
	v_mov_b32_e32 v30, 0
	v_cmp_ne_u32_e32 vcc, 0, v24
	s_and_saveexec_b64 s[76:77], vcc
	s_cbranch_execz .LBB2_1046
; %bb.1039:                             ;   in Loop: Header=BB2_900 Depth=2
	v_bfe_u32 v24, v24, 23, 8
	v_cmp_gt_u32_e64 s[16:17], s49, v24
	v_sub_u32_e32 v29, 0x71, v24
	v_cmp_eq_u32_e32 vcc, 0, v24
	v_cndmask_b32_e64 v29, 0, v29, s[16:17]
	v_cndmask_b32_e32 v30, v29, v12, vcc
	v_or_b32_e32 v32, 0x800000, v27
	v_add_u32_e32 v29, 21, v30
	v_cndmask_b32_e32 v27, v32, v27, vcc
	v_lshlrev_b64 v[32:33], v29, -1
	v_add_u32_e32 v29, 20, v30
	v_bfi_b32 v32, v32, 0, v27
	v_lshlrev_b64 v[37:38], v29, 1
	v_lshrrev_b64 v[27:28], v30, v[27:28]
	v_bfi_b32 v33, v33, 0, 0
	v_cmp_eq_u64_e64 s[16:17], v[32:33], v[37:38]
	v_mov_b32_e32 v29, v28
	v_mov_b32_e32 v28, v27
	s_and_saveexec_b64 s[78:79], s[16:17]
; %bb.1040:                             ;   in Loop: Header=BB2_900 Depth=2
	v_bfe_u32 v28, v27, 21, 1
	v_add_co_u32_e64 v28, s[16:17], v27, v28
	v_add_co_u32_e64 v28, s[16:17], -1, v28
; %bb.1041:                             ;   in Loop: Header=BB2_900 Depth=2
	s_or_b64 exec, exec, s[78:79]
	v_add_u32_e32 v24, 0xffffff81, v24
	v_cndmask_b32_e32 v24, v24, v48, vcc
	v_lshrrev_b32_e32 v29, 23, v27
	v_add3_u32 v30, v30, v24, v29
	v_add_u32_e32 v29, 14, v30
	v_and_b32_e32 v24, 0x1fffff, v28
	v_add_u32_e32 v27, v24, v27
	v_mov_b32_e32 v28, v3
	v_cmp_ne_u32_e32 vcc, 0, v29
                                        ; implicit-def: $vgpr24
	s_and_saveexec_b64 s[16:17], vcc
	s_xor_b64 s[16:17], exec, s[16:17]
; %bb.1042:                             ;   in Loop: Header=BB2_900 Depth=2
	v_cmp_lt_u64_e32 vcc, s[60:61], v[27:28]
	v_add_u32_e32 v24, 15, v30
	v_cndmask_b32_e32 v24, v29, v24, vcc
	v_cndmask_b32_e64 v29, 0, 1, vcc
	v_lshrrev_b64 v[27:28], v29, v[27:28]
; %bb.1043:                             ;   in Loop: Header=BB2_900 Depth=2
	s_andn2_saveexec_b64 s[16:17], s[16:17]
; %bb.1044:                             ;   in Loop: Header=BB2_900 Depth=2
	v_bfe_u32 v24, v27, 23, 1
; %bb.1045:                             ;   in Loop: Header=BB2_900 Depth=2
	s_or_b64 exec, exec, s[16:17]
	v_lshrrev_b64 v[27:28], 21, v[27:28]
	v_cmp_gt_i32_e32 vcc, 32, v24
	v_cndmask_b32_e32 v28, 0, v28, vcc
	v_cndmask_b32_e32 v27, 3, v27, vcc
	v_cmp_eq_u32_e32 vcc, 0, v24
	v_min_i32_e32 v24, 31, v24
	v_cmp_eq_u64_e64 s[16:17], 0, v[27:28]
	v_lshlrev_b32_e32 v24, 2, v24
	v_and_b32_e32 v24, 0xfc, v24
	v_and_or_b32 v24, v27, 3, v24
	s_and_b64 s[16:17], vcc, s[16:17]
	v_cndmask_b32_e64 v24, v24, 0, s[16:17]
	v_or_b32_e32 v30, v24, v0
.LBB2_1046:                             ;   in Loop: Header=BB2_900 Depth=2
	s_or_b64 exec, exec, s[76:77]
                                        ; implicit-def: $vgpr0
.LBB2_1047:                             ;   in Loop: Header=BB2_900 Depth=2
	s_andn2_saveexec_b64 s[16:17], s[74:75]
; %bb.1048:                             ;   in Loop: Header=BB2_900 Depth=2
	v_or_b32_e32 v30, 0x7b, v0
; %bb.1049:                             ;   in Loop: Header=BB2_900 Depth=2
	s_or_b64 exec, exec, s[16:17]
                                        ; implicit-def: $vgpr24
                                        ; implicit-def: $vgpr27_vgpr28
.LBB2_1050:                             ;   in Loop: Header=BB2_900 Depth=2
	s_andn2_saveexec_b64 s[16:17], s[72:73]
	s_cbranch_execz .LBB2_1056
; %bb.1051:                             ;   in Loop: Header=BB2_900 Depth=2
	v_cmp_ne_u64_e32 vcc, 0, v[27:28]
                                        ; implicit-def: $vgpr30
	s_and_saveexec_b64 s[72:73], vcc
	s_xor_b64 s[72:73], exec, s[72:73]
; %bb.1052:                             ;   in Loop: Header=BB2_900 Depth=2
	v_or_b32_sdwa v30, v24, s50 dst_sel:DWORD dst_unused:UNUSED_PAD src0_sel:BYTE_3 src1_sel:DWORD
                                        ; implicit-def: $vgpr24
; %bb.1053:                             ;   in Loop: Header=BB2_900 Depth=2
	s_andn2_saveexec_b64 s[72:73], s[72:73]
; %bb.1054:                             ;   in Loop: Header=BB2_900 Depth=2
	v_cmp_lt_i32_e32 vcc, -1, v24
	v_cndmask_b32_e32 v30, v49, v11, vcc
; %bb.1055:                             ;   in Loop: Header=BB2_900 Depth=2
	s_or_b64 exec, exec, s[72:73]
.LBB2_1056:                             ;   in Loop: Header=BB2_900 Depth=2
	s_or_b64 exec, exec, s[16:17]
	v_lshrrev_b16_e32 v27, 8, v2
	v_cmp_ne_u16_e32 vcc, 0, v27
	v_mov_b32_e32 v0, 0
	s_and_saveexec_b64 s[16:17], vcc
	s_cbranch_execz .LBB2_1064
; %bb.1057:                             ;   in Loop: Header=BB2_900 Depth=2
	v_cmp_ne_u16_e32 vcc, s48, v27
	v_bfrev_b32_e32 v0, 1
	s_and_saveexec_b64 s[72:73], vcc
	s_cbranch_execz .LBB2_1063
; %bb.1058:                             ;   in Loop: Header=BB2_900 Depth=2
	v_and_b32_e32 v0, 0x7c, v27
	v_and_b32_e32 v24, 3, v27
	v_cmp_ne_u32_e32 vcc, s39, v0
                                        ; implicit-def: $vgpr0
	s_and_saveexec_b64 s[74:75], vcc
	s_xor_b64 s[74:75], exec, s[74:75]
	s_cbranch_execz .LBB2_1060
; %bb.1059:                             ;   in Loop: Header=BB2_900 Depth=2
	v_ffbh_u32_e32 v29, v24
	v_min_u32_e32 v29, 32, v29
	v_mov_b32_e32 v28, v3
	v_subrev_u32_e32 v32, 29, v29
	v_bfe_u32 v0, v27, 2, 5
	v_lshlrev_b64 v[27:28], v32, v[27:28]
	v_cmp_eq_u32_e32 vcc, 0, v0
	v_and_b32_e32 v27, 3, v27
	v_sub_u32_e32 v28, 30, v29
	v_cndmask_b32_e32 v24, v24, v27, vcc
	v_lshlrev_b32_e32 v27, 16, v2
	v_cndmask_b32_e32 v0, v0, v28, vcc
	v_and_b32_e32 v27, 0x80000000, v27
	v_lshl_add_u32 v0, v0, 23, v27
	v_lshl_or_b32 v0, v24, 21, v0
	v_add_u32_e32 v0, 0x38000000, v0
                                        ; implicit-def: $vgpr24
.LBB2_1060:                             ;   in Loop: Header=BB2_900 Depth=2
	s_andn2_saveexec_b64 s[74:75], s[74:75]
; %bb.1061:                             ;   in Loop: Header=BB2_900 Depth=2
	v_cmp_lt_i16_e32 vcc, -1, v2
	v_cndmask_b32_e32 v0, v8, v54, vcc
	v_cmp_eq_u32_e32 vcc, 0, v24
	v_cndmask_b32_e32 v0, v55, v0, vcc
; %bb.1062:                             ;   in Loop: Header=BB2_900 Depth=2
	s_or_b64 exec, exec, s[74:75]
.LBB2_1063:                             ;   in Loop: Header=BB2_900 Depth=2
	s_or_b64 exec, exec, s[72:73]
.LBB2_1064:                             ;   in Loop: Header=BB2_900 Depth=2
	s_or_b64 exec, exec, s[16:17]
	v_mul_f32_e32 v24, v62, v0
	v_and_b32_e32 v28, 0x7f800000, v24
	v_mov_b32_e32 v29, v3
	v_cmp_ne_u64_e32 vcc, s[56:57], v[28:29]
	v_and_b32_e32 v27, 0x7fffff, v24
	v_mov_b32_e32 v28, v3
                                        ; implicit-def: $vgpr32
	s_and_saveexec_b64 s[16:17], vcc
	s_xor_b64 s[72:73], exec, s[16:17]
	s_cbranch_execz .LBB2_1078
; %bb.1065:                             ;   in Loop: Header=BB2_900 Depth=2
	v_and_b32_e32 v32, 0x7fffffff, v24
	v_mov_b32_e32 v33, v3
	v_cmp_gt_u64_e32 vcc, s[58:59], v[32:33]
	v_and_b32_sdwa v0, v24, s48 dst_sel:DWORD dst_unused:UNUSED_PAD src0_sel:BYTE_3 src1_sel:DWORD
                                        ; implicit-def: $vgpr32
	s_and_saveexec_b64 s[16:17], vcc
	s_xor_b64 s[74:75], exec, s[16:17]
	s_cbranch_execz .LBB2_1075
; %bb.1066:                             ;   in Loop: Header=BB2_900 Depth=2
	v_mov_b32_e32 v32, 0
	v_cmp_ne_u32_e32 vcc, 0, v24
	s_and_saveexec_b64 s[76:77], vcc
	s_cbranch_execz .LBB2_1074
; %bb.1067:                             ;   in Loop: Header=BB2_900 Depth=2
	v_bfe_u32 v24, v24, 23, 8
	v_cmp_gt_u32_e64 s[16:17], s49, v24
	v_sub_u32_e32 v29, 0x71, v24
	v_cmp_eq_u32_e32 vcc, 0, v24
	v_cndmask_b32_e64 v29, 0, v29, s[16:17]
	v_cndmask_b32_e32 v32, v29, v12, vcc
	v_add_u32_e32 v29, 21, v32
	v_or_b32_e32 v33, 0x800000, v27
	v_lshlrev_b64 v[37:38], v29, -1
	v_cndmask_b32_e32 v27, v33, v27, vcc
	v_add_u32_e32 v29, 20, v32
	v_bfi_b32 v37, v37, 0, v27
	v_lshlrev_b64 v[44:45], v29, 1
	v_lshrrev_b64 v[27:28], v32, v[27:28]
	v_bfi_b32 v38, v38, 0, 0
	v_cmp_eq_u64_e64 s[16:17], v[37:38], v[44:45]
	v_mov_b32_e32 v29, v28
	v_mov_b32_e32 v28, v27
	s_and_saveexec_b64 s[78:79], s[16:17]
; %bb.1068:                             ;   in Loop: Header=BB2_900 Depth=2
	v_bfe_u32 v28, v27, 21, 1
	v_add_co_u32_e64 v28, s[16:17], v27, v28
	v_add_co_u32_e64 v28, s[16:17], -1, v28
; %bb.1069:                             ;   in Loop: Header=BB2_900 Depth=2
	s_or_b64 exec, exec, s[78:79]
	v_add_u32_e32 v24, 0xffffff81, v24
	v_cndmask_b32_e32 v24, v24, v48, vcc
	v_lshrrev_b32_e32 v29, 23, v27
	v_add3_u32 v32, v32, v24, v29
	v_add_u32_e32 v29, 14, v32
	v_and_b32_e32 v24, 0x1fffff, v28
	v_add_u32_e32 v27, v24, v27
	v_mov_b32_e32 v28, v3
	v_cmp_ne_u32_e32 vcc, 0, v29
                                        ; implicit-def: $vgpr24
	s_and_saveexec_b64 s[16:17], vcc
	s_xor_b64 s[16:17], exec, s[16:17]
; %bb.1070:                             ;   in Loop: Header=BB2_900 Depth=2
	v_cmp_lt_u64_e32 vcc, s[60:61], v[27:28]
	v_add_u32_e32 v24, 15, v32
	v_cndmask_b32_e32 v24, v29, v24, vcc
	v_cndmask_b32_e64 v29, 0, 1, vcc
	v_lshrrev_b64 v[27:28], v29, v[27:28]
; %bb.1071:                             ;   in Loop: Header=BB2_900 Depth=2
	s_andn2_saveexec_b64 s[16:17], s[16:17]
; %bb.1072:                             ;   in Loop: Header=BB2_900 Depth=2
	v_bfe_u32 v24, v27, 23, 1
; %bb.1073:                             ;   in Loop: Header=BB2_900 Depth=2
	s_or_b64 exec, exec, s[16:17]
	v_lshrrev_b64 v[27:28], 21, v[27:28]
	v_cmp_gt_i32_e32 vcc, 32, v24
	v_cndmask_b32_e32 v28, 0, v28, vcc
	v_cndmask_b32_e32 v27, 3, v27, vcc
	v_cmp_eq_u32_e32 vcc, 0, v24
	v_min_i32_e32 v24, 31, v24
	v_cmp_eq_u64_e64 s[16:17], 0, v[27:28]
	v_lshlrev_b32_e32 v24, 2, v24
	v_and_b32_e32 v24, 0xfc, v24
	v_and_or_b32 v24, v27, 3, v24
	s_and_b64 s[16:17], vcc, s[16:17]
	v_cndmask_b32_e64 v24, v24, 0, s[16:17]
	v_or_b32_e32 v32, v24, v0
.LBB2_1074:                             ;   in Loop: Header=BB2_900 Depth=2
	s_or_b64 exec, exec, s[76:77]
                                        ; implicit-def: $vgpr0
.LBB2_1075:                             ;   in Loop: Header=BB2_900 Depth=2
	s_andn2_saveexec_b64 s[16:17], s[74:75]
; %bb.1076:                             ;   in Loop: Header=BB2_900 Depth=2
	v_or_b32_e32 v32, 0x7b, v0
; %bb.1077:                             ;   in Loop: Header=BB2_900 Depth=2
	s_or_b64 exec, exec, s[16:17]
                                        ; implicit-def: $vgpr24
                                        ; implicit-def: $vgpr27_vgpr28
.LBB2_1078:                             ;   in Loop: Header=BB2_900 Depth=2
	s_andn2_saveexec_b64 s[16:17], s[72:73]
	s_cbranch_execz .LBB2_1084
; %bb.1079:                             ;   in Loop: Header=BB2_900 Depth=2
	v_cmp_ne_u64_e32 vcc, 0, v[27:28]
                                        ; implicit-def: $vgpr32
	s_and_saveexec_b64 s[72:73], vcc
	s_xor_b64 s[72:73], exec, s[72:73]
; %bb.1080:                             ;   in Loop: Header=BB2_900 Depth=2
	v_or_b32_sdwa v32, v24, s50 dst_sel:DWORD dst_unused:UNUSED_PAD src0_sel:BYTE_3 src1_sel:DWORD
                                        ; implicit-def: $vgpr24
; %bb.1081:                             ;   in Loop: Header=BB2_900 Depth=2
	s_andn2_saveexec_b64 s[72:73], s[72:73]
; %bb.1082:                             ;   in Loop: Header=BB2_900 Depth=2
	v_cmp_lt_i32_e32 vcc, -1, v24
	v_cndmask_b32_e32 v32, v49, v11, vcc
; %bb.1083:                             ;   in Loop: Header=BB2_900 Depth=2
	s_or_b64 exec, exec, s[72:73]
.LBB2_1084:                             ;   in Loop: Header=BB2_900 Depth=2
	s_or_b64 exec, exec, s[16:17]
	v_and_b32_sdwa v27, v2, s37 dst_sel:DWORD dst_unused:UNUSED_PAD src0_sel:WORD_1 src1_sel:DWORD
	v_lshrrev_b32_e32 v0, 16, v2
	v_cmp_ne_u16_e32 vcc, 0, v27
	v_mov_b32_e32 v24, 0
	s_and_saveexec_b64 s[16:17], vcc
	s_cbranch_execz .LBB2_1092
; %bb.1085:                             ;   in Loop: Header=BB2_900 Depth=2
	v_cmp_ne_u16_e32 vcc, s48, v27
	v_bfrev_b32_e32 v24, 1
	s_and_saveexec_b64 s[72:73], vcc
	s_cbranch_execz .LBB2_1091
; %bb.1086:                             ;   in Loop: Header=BB2_900 Depth=2
	v_and_b32_e32 v24, 0x7c0000, v2
	v_bfe_u32 v27, v2, 16, 2
	v_cmp_ne_u32_e32 vcc, s51, v24
                                        ; implicit-def: $vgpr24
	s_and_saveexec_b64 s[74:75], vcc
	s_xor_b64 s[74:75], exec, s[74:75]
	s_cbranch_execz .LBB2_1088
; %bb.1087:                             ;   in Loop: Header=BB2_900 Depth=2
	v_ffbh_u32_e32 v28, v27
	v_min_u32_e32 v33, 32, v28
	v_subrev_u32_e32 v28, 29, v33
	v_lshlrev_b64 v[28:29], v28, v[0:1]
	v_bfe_u32 v24, v2, 18, 5
	v_sub_u32_e32 v0, 30, v33
	v_and_b32_e32 v28, 3, v28
	v_cmp_eq_u32_e32 vcc, 0, v24
	v_cndmask_b32_e32 v0, v24, v0, vcc
	v_cndmask_b32_e32 v24, v27, v28, vcc
	v_lshlrev_b32_e32 v27, 8, v2
	v_and_b32_e32 v27, 0x80000000, v27
	v_lshl_add_u32 v0, v0, 23, v27
	v_lshl_or_b32 v0, v24, 21, v0
	v_add_u32_e32 v24, 0x38000000, v0
                                        ; implicit-def: $vgpr27
                                        ; implicit-def: $vgpr0
.LBB2_1088:                             ;   in Loop: Header=BB2_900 Depth=2
	s_andn2_saveexec_b64 s[74:75], s[74:75]
; %bb.1089:                             ;   in Loop: Header=BB2_900 Depth=2
	v_cmp_gt_i16_sdwa vcc, sext(v0), v7 src0_sel:BYTE_0 src1_sel:DWORD
	v_cndmask_b32_e32 v0, v8, v54, vcc
	v_cmp_eq_u32_e32 vcc, 0, v27
	v_cndmask_b32_e32 v24, v55, v0, vcc
; %bb.1090:                             ;   in Loop: Header=BB2_900 Depth=2
	s_or_b64 exec, exec, s[74:75]
.LBB2_1091:                             ;   in Loop: Header=BB2_900 Depth=2
	s_or_b64 exec, exec, s[72:73]
.LBB2_1092:                             ;   in Loop: Header=BB2_900 Depth=2
	s_or_b64 exec, exec, s[16:17]
	v_mul_f32_e32 v24, v62, v24
	v_and_b32_e32 v28, 0x7f800000, v24
	v_mov_b32_e32 v29, v3
	v_cmp_ne_u64_e32 vcc, s[56:57], v[28:29]
	v_and_b32_e32 v27, 0x7fffff, v24
	v_mov_b32_e32 v28, v3
                                        ; implicit-def: $vgpr33
	s_and_saveexec_b64 s[16:17], vcc
	s_xor_b64 s[72:73], exec, s[16:17]
	s_cbranch_execz .LBB2_1106
; %bb.1093:                             ;   in Loop: Header=BB2_900 Depth=2
	v_and_b32_e32 v37, 0x7fffffff, v24
	v_mov_b32_e32 v38, v3
	v_cmp_gt_u64_e32 vcc, s[58:59], v[37:38]
	v_and_b32_sdwa v0, v24, s48 dst_sel:DWORD dst_unused:UNUSED_PAD src0_sel:BYTE_3 src1_sel:DWORD
                                        ; implicit-def: $vgpr33
	s_and_saveexec_b64 s[16:17], vcc
	s_xor_b64 s[74:75], exec, s[16:17]
	s_cbranch_execz .LBB2_1103
; %bb.1094:                             ;   in Loop: Header=BB2_900 Depth=2
	v_mov_b32_e32 v33, 0
	v_cmp_ne_u32_e32 vcc, 0, v24
	s_and_saveexec_b64 s[76:77], vcc
	s_cbranch_execz .LBB2_1102
; %bb.1095:                             ;   in Loop: Header=BB2_900 Depth=2
	v_bfe_u32 v24, v24, 23, 8
	v_cmp_gt_u32_e64 s[16:17], s49, v24
	v_sub_u32_e32 v29, 0x71, v24
	v_cmp_eq_u32_e32 vcc, 0, v24
	v_cndmask_b32_e64 v29, 0, v29, s[16:17]
	v_cndmask_b32_e32 v33, v29, v12, vcc
	v_or_b32_e32 v37, 0x800000, v27
	v_add_u32_e32 v29, 21, v33
	v_cndmask_b32_e32 v27, v37, v27, vcc
	v_lshlrev_b64 v[37:38], v29, -1
	v_add_u32_e32 v29, 20, v33
	v_bfi_b32 v37, v37, 0, v27
	v_lshlrev_b64 v[44:45], v29, 1
	v_lshrrev_b64 v[27:28], v33, v[27:28]
	v_bfi_b32 v38, v38, 0, 0
	v_cmp_eq_u64_e64 s[16:17], v[37:38], v[44:45]
	v_mov_b32_e32 v29, v28
	v_mov_b32_e32 v28, v27
	s_and_saveexec_b64 s[78:79], s[16:17]
; %bb.1096:                             ;   in Loop: Header=BB2_900 Depth=2
	v_bfe_u32 v28, v27, 21, 1
	v_add_co_u32_e64 v28, s[16:17], v27, v28
	v_add_co_u32_e64 v28, s[16:17], -1, v28
; %bb.1097:                             ;   in Loop: Header=BB2_900 Depth=2
	s_or_b64 exec, exec, s[78:79]
	v_add_u32_e32 v24, 0xffffff81, v24
	v_cndmask_b32_e32 v24, v24, v48, vcc
	v_lshrrev_b32_e32 v29, 23, v27
	v_add3_u32 v33, v33, v24, v29
	v_add_u32_e32 v29, 14, v33
	v_and_b32_e32 v24, 0x1fffff, v28
	v_add_u32_e32 v27, v24, v27
	v_mov_b32_e32 v28, v3
	v_cmp_ne_u32_e32 vcc, 0, v29
                                        ; implicit-def: $vgpr24
	s_and_saveexec_b64 s[16:17], vcc
	s_xor_b64 s[16:17], exec, s[16:17]
; %bb.1098:                             ;   in Loop: Header=BB2_900 Depth=2
	v_cmp_lt_u64_e32 vcc, s[60:61], v[27:28]
	v_add_u32_e32 v24, 15, v33
	v_cndmask_b32_e32 v24, v29, v24, vcc
	v_cndmask_b32_e64 v29, 0, 1, vcc
	v_lshrrev_b64 v[27:28], v29, v[27:28]
; %bb.1099:                             ;   in Loop: Header=BB2_900 Depth=2
	s_andn2_saveexec_b64 s[16:17], s[16:17]
; %bb.1100:                             ;   in Loop: Header=BB2_900 Depth=2
	v_bfe_u32 v24, v27, 23, 1
; %bb.1101:                             ;   in Loop: Header=BB2_900 Depth=2
	s_or_b64 exec, exec, s[16:17]
	v_lshrrev_b64 v[27:28], 21, v[27:28]
	v_cmp_gt_i32_e32 vcc, 32, v24
	v_cndmask_b32_e32 v28, 0, v28, vcc
	v_cndmask_b32_e32 v27, 3, v27, vcc
	v_cmp_eq_u32_e32 vcc, 0, v24
	v_min_i32_e32 v24, 31, v24
	v_cmp_eq_u64_e64 s[16:17], 0, v[27:28]
	v_lshlrev_b32_e32 v24, 2, v24
	v_and_b32_e32 v24, 0xfc, v24
	v_and_or_b32 v24, v27, 3, v24
	s_and_b64 s[16:17], vcc, s[16:17]
	v_cndmask_b32_e64 v24, v24, 0, s[16:17]
	v_or_b32_e32 v33, v24, v0
.LBB2_1102:                             ;   in Loop: Header=BB2_900 Depth=2
	s_or_b64 exec, exec, s[76:77]
                                        ; implicit-def: $vgpr0
.LBB2_1103:                             ;   in Loop: Header=BB2_900 Depth=2
	s_andn2_saveexec_b64 s[16:17], s[74:75]
; %bb.1104:                             ;   in Loop: Header=BB2_900 Depth=2
	v_or_b32_e32 v33, 0x7b, v0
; %bb.1105:                             ;   in Loop: Header=BB2_900 Depth=2
	s_or_b64 exec, exec, s[16:17]
                                        ; implicit-def: $vgpr24
                                        ; implicit-def: $vgpr27_vgpr28
.LBB2_1106:                             ;   in Loop: Header=BB2_900 Depth=2
	s_andn2_saveexec_b64 s[16:17], s[72:73]
	s_cbranch_execz .LBB2_1112
; %bb.1107:                             ;   in Loop: Header=BB2_900 Depth=2
	v_cmp_ne_u64_e32 vcc, 0, v[27:28]
                                        ; implicit-def: $vgpr33
	s_and_saveexec_b64 s[72:73], vcc
	s_xor_b64 s[72:73], exec, s[72:73]
; %bb.1108:                             ;   in Loop: Header=BB2_900 Depth=2
	v_or_b32_sdwa v33, v24, s50 dst_sel:DWORD dst_unused:UNUSED_PAD src0_sel:BYTE_3 src1_sel:DWORD
                                        ; implicit-def: $vgpr24
; %bb.1109:                             ;   in Loop: Header=BB2_900 Depth=2
	s_andn2_saveexec_b64 s[72:73], s[72:73]
; %bb.1110:                             ;   in Loop: Header=BB2_900 Depth=2
	v_cmp_lt_i32_e32 vcc, -1, v24
	v_cndmask_b32_e32 v33, v49, v11, vcc
; %bb.1111:                             ;   in Loop: Header=BB2_900 Depth=2
	s_or_b64 exec, exec, s[72:73]
.LBB2_1112:                             ;   in Loop: Header=BB2_900 Depth=2
	s_or_b64 exec, exec, s[16:17]
	v_cmp_lt_u32_e32 vcc, s47, v2
	v_mov_b32_e32 v24, 0
	s_and_saveexec_b64 s[16:17], vcc
	s_cbranch_execz .LBB2_1120
; %bb.1113:                             ;   in Loop: Header=BB2_900 Depth=2
	v_lshrrev_b32_e32 v0, 24, v2
	v_cmp_ne_u32_e32 vcc, s48, v0
	v_bfrev_b32_e32 v24, 1
	s_and_saveexec_b64 s[72:73], vcc
	s_cbranch_execz .LBB2_1119
; %bb.1114:                             ;   in Loop: Header=BB2_900 Depth=2
	v_and_b32_e32 v24, 0x7c000000, v2
	v_bfe_u32 v27, v2, 24, 2
	v_cmp_ne_u32_e32 vcc, s52, v24
                                        ; implicit-def: $vgpr24
	s_and_saveexec_b64 s[74:75], vcc
	s_xor_b64 s[74:75], exec, s[74:75]
	s_cbranch_execz .LBB2_1116
; %bb.1115:                             ;   in Loop: Header=BB2_900 Depth=2
	v_ffbh_u32_e32 v28, v27
	v_min_u32_e32 v37, 32, v28
	v_subrev_u32_e32 v28, 29, v37
	v_bfe_u32 v24, v2, 26, 5
	v_lshlrev_b64 v[28:29], v28, v[0:1]
	v_sub_u32_e32 v0, 30, v37
	v_cmp_eq_u32_e32 vcc, 0, v24
	v_and_b32_e32 v28, 3, v28
	v_cndmask_b32_e32 v0, v24, v0, vcc
	v_and_b32_e32 v2, 0x80000000, v2
	v_cndmask_b32_e32 v24, v27, v28, vcc
	v_lshl_add_u32 v0, v0, 23, v2
	v_lshl_or_b32 v0, v24, 21, v0
	v_add_u32_e32 v24, 0x38000000, v0
                                        ; implicit-def: $vgpr27
.LBB2_1116:                             ;   in Loop: Header=BB2_900 Depth=2
	s_andn2_saveexec_b64 s[74:75], s[74:75]
; %bb.1117:                             ;   in Loop: Header=BB2_900 Depth=2
	v_cmp_lt_i32_e32 vcc, -1, v2
	v_cndmask_b32_e32 v0, v8, v54, vcc
	v_cmp_eq_u32_e32 vcc, 0, v27
	v_cndmask_b32_e32 v24, v55, v0, vcc
; %bb.1118:                             ;   in Loop: Header=BB2_900 Depth=2
	s_or_b64 exec, exec, s[74:75]
.LBB2_1119:                             ;   in Loop: Header=BB2_900 Depth=2
	s_or_b64 exec, exec, s[72:73]
.LBB2_1120:                             ;   in Loop: Header=BB2_900 Depth=2
	s_or_b64 exec, exec, s[16:17]
	v_mul_f32_e32 v27, v62, v24
	v_and_b32_e32 v28, 0x7f800000, v27
	v_mov_b32_e32 v29, v3
	v_cmp_ne_u64_e32 vcc, s[56:57], v[28:29]
	v_and_b32_e32 v2, 0x7fffff, v27
                                        ; implicit-def: $vgpr24
	s_and_saveexec_b64 s[16:17], vcc
	s_xor_b64 s[72:73], exec, s[16:17]
	s_cbranch_execz .LBB2_1134
; %bb.1121:                             ;   in Loop: Header=BB2_900 Depth=2
	v_and_b32_e32 v28, 0x7fffffff, v27
	v_mov_b32_e32 v29, v3
	v_cmp_gt_u64_e32 vcc, s[58:59], v[28:29]
	v_and_b32_sdwa v0, v27, s48 dst_sel:DWORD dst_unused:UNUSED_PAD src0_sel:BYTE_3 src1_sel:DWORD
                                        ; implicit-def: $vgpr24
	s_and_saveexec_b64 s[16:17], vcc
	s_xor_b64 s[74:75], exec, s[16:17]
	s_cbranch_execz .LBB2_1131
; %bb.1122:                             ;   in Loop: Header=BB2_900 Depth=2
	v_mov_b32_e32 v24, 0
	v_cmp_ne_u32_e32 vcc, 0, v27
	s_and_saveexec_b64 s[76:77], vcc
	s_cbranch_execz .LBB2_1130
; %bb.1123:                             ;   in Loop: Header=BB2_900 Depth=2
	v_bfe_u32 v24, v27, 23, 8
	v_cmp_gt_u32_e64 s[16:17], s49, v24
	v_sub_u32_e32 v27, 0x71, v24
	v_cmp_eq_u32_e32 vcc, 0, v24
	v_cndmask_b32_e64 v27, 0, v27, s[16:17]
	v_cndmask_b32_e32 v37, v27, v12, vcc
	v_or_b32_e32 v28, 0x800000, v2
	v_add_u32_e32 v27, 21, v37
	v_cndmask_b32_e32 v2, v28, v2, vcc
	v_lshlrev_b64 v[27:28], v27, -1
	v_add_u32_e32 v29, 20, v37
	v_lshlrev_b64 v[38:39], v29, 1
	v_bfi_b32 v28, v28, 0, 0
	v_bfi_b32 v27, v27, 0, v2
	v_cmp_eq_u64_e64 s[16:17], v[27:28], v[38:39]
	v_lshrrev_b64 v[27:28], v37, v[2:3]
	v_mov_b32_e32 v29, v28
	v_mov_b32_e32 v28, v27
	s_and_saveexec_b64 s[78:79], s[16:17]
; %bb.1124:                             ;   in Loop: Header=BB2_900 Depth=2
	v_bfe_u32 v2, v27, 21, 1
	v_add_co_u32_e64 v2, s[16:17], v27, v2
	v_add_co_u32_e64 v28, s[16:17], -1, v2
; %bb.1125:                             ;   in Loop: Header=BB2_900 Depth=2
	s_or_b64 exec, exec, s[78:79]
	v_add_u32_e32 v2, 0xffffff81, v24
	v_cndmask_b32_e32 v2, v2, v48, vcc
	v_lshrrev_b32_e32 v24, 23, v27
	v_add3_u32 v37, v37, v2, v24
	v_add_u32_e32 v29, 14, v37
	v_and_b32_e32 v2, 0x1fffff, v28
	v_add_u32_e32 v2, v2, v27
	v_cmp_ne_u32_e32 vcc, 0, v29
                                        ; implicit-def: $vgpr27_vgpr28
                                        ; implicit-def: $vgpr24
	s_and_saveexec_b64 s[16:17], vcc
	s_xor_b64 s[16:17], exec, s[16:17]
; %bb.1126:                             ;   in Loop: Header=BB2_900 Depth=2
	v_cmp_lt_u64_e32 vcc, s[60:61], v[2:3]
	v_add_u32_e32 v24, 15, v37
	v_cndmask_b32_e64 v27, 0, 1, vcc
	v_cndmask_b32_e32 v24, v29, v24, vcc
	v_lshrrev_b64 v[27:28], v27, v[2:3]
; %bb.1127:                             ;   in Loop: Header=BB2_900 Depth=2
	s_andn2_saveexec_b64 s[16:17], s[16:17]
; %bb.1128:                             ;   in Loop: Header=BB2_900 Depth=2
	v_mov_b32_e32 v28, v3
	v_bfe_u32 v24, v2, 23, 1
	v_mov_b32_e32 v27, v2
; %bb.1129:                             ;   in Loop: Header=BB2_900 Depth=2
	s_or_b64 exec, exec, s[16:17]
	v_lshrrev_b64 v[27:28], 21, v[27:28]
	v_cmp_gt_i32_e32 vcc, 32, v24
	v_cndmask_b32_e32 v28, 0, v28, vcc
	v_cndmask_b32_e32 v27, 3, v27, vcc
	v_min_i32_e32 v2, 31, v24
	v_cmp_eq_u64_e64 s[16:17], 0, v[27:28]
	v_lshlrev_b32_e32 v2, 2, v2
	v_cmp_eq_u32_e32 vcc, 0, v24
	v_and_b32_e32 v2, 0xfc, v2
	v_and_or_b32 v2, v27, 3, v2
	s_and_b64 s[16:17], vcc, s[16:17]
	v_cndmask_b32_e64 v2, v2, 0, s[16:17]
	v_or_b32_e32 v24, v2, v0
.LBB2_1130:                             ;   in Loop: Header=BB2_900 Depth=2
	s_or_b64 exec, exec, s[76:77]
                                        ; implicit-def: $vgpr0
.LBB2_1131:                             ;   in Loop: Header=BB2_900 Depth=2
	s_andn2_saveexec_b64 s[16:17], s[74:75]
; %bb.1132:                             ;   in Loop: Header=BB2_900 Depth=2
	v_or_b32_e32 v24, 0x7b, v0
; %bb.1133:                             ;   in Loop: Header=BB2_900 Depth=2
	s_or_b64 exec, exec, s[16:17]
                                        ; implicit-def: $vgpr27
.LBB2_1134:                             ;   in Loop: Header=BB2_900 Depth=2
	s_andn2_saveexec_b64 s[16:17], s[72:73]
	s_cbranch_execz .LBB2_1140
; %bb.1135:                             ;   in Loop: Header=BB2_900 Depth=2
	v_cmp_ne_u64_e32 vcc, 0, v[2:3]
                                        ; implicit-def: $vgpr24
	s_and_saveexec_b64 s[72:73], vcc
	s_xor_b64 s[72:73], exec, s[72:73]
; %bb.1136:                             ;   in Loop: Header=BB2_900 Depth=2
	v_or_b32_sdwa v24, v27, s50 dst_sel:DWORD dst_unused:UNUSED_PAD src0_sel:BYTE_3 src1_sel:DWORD
                                        ; implicit-def: $vgpr27
; %bb.1137:                             ;   in Loop: Header=BB2_900 Depth=2
	s_andn2_saveexec_b64 s[72:73], s[72:73]
; %bb.1138:                             ;   in Loop: Header=BB2_900 Depth=2
	v_cmp_lt_i32_e32 vcc, -1, v27
	v_cndmask_b32_e32 v24, v49, v11, vcc
; %bb.1139:                             ;   in Loop: Header=BB2_900 Depth=2
	s_or_b64 exec, exec, s[72:73]
.LBB2_1140:                             ;   in Loop: Header=BB2_900 Depth=2
	s_or_b64 exec, exec, s[16:17]
	s_waitcnt vmcnt(0)
	v_cmp_ne_u16_sdwa s[72:73], v17, v3 src0_sel:BYTE_0 src1_sel:DWORD
	v_mov_b32_e32 v28, 0
	v_mov_b32_e32 v27, 0
	s_and_saveexec_b64 s[16:17], s[72:73]
	s_cbranch_execz .LBB2_1148
; %bb.1141:                             ;   in Loop: Header=BB2_900 Depth=2
	v_cmp_ne_u16_sdwa s[74:75], sext(v17), s38 src0_sel:BYTE_0 src1_sel:DWORD
	v_bfrev_b32_e32 v27, 1
	s_and_saveexec_b64 s[72:73], s[74:75]
	s_cbranch_execz .LBB2_1147
; %bb.1142:                             ;   in Loop: Header=BB2_900 Depth=2
	v_and_b32_e32 v2, 0x7c, v17
	v_and_b32_e32 v0, 3, v17
	v_cmp_ne_u32_e32 vcc, s39, v2
                                        ; implicit-def: $vgpr27
	s_and_saveexec_b64 s[74:75], vcc
	s_xor_b64 s[74:75], exec, s[74:75]
	s_cbranch_execz .LBB2_1144
; %bb.1143:                             ;   in Loop: Header=BB2_900 Depth=2
	v_ffbh_u32_e32 v27, v0
	v_min_u32_e32 v27, 32, v27
	v_bfe_u32 v2, v17, 2, 5
	v_subrev_u32_e32 v29, 29, v27
	v_lshlrev_b64 v[37:38], v29, v[17:18]
	v_sub_u32_e32 v18, 30, v27
	v_cmp_eq_u32_e32 vcc, 0, v2
	v_cndmask_b32_e32 v2, v2, v18, vcc
	v_lshlrev_b32_e32 v18, 24, v17
	v_and_b32_e32 v27, 3, v37
	v_and_b32_e32 v18, 0x80000000, v18
	v_cndmask_b32_e32 v0, v0, v27, vcc
	v_lshl_add_u32 v2, v2, 23, v18
	v_lshl_or_b32 v0, v0, 21, v2
	v_add_u32_e32 v27, 0x38000000, v0
                                        ; implicit-def: $vgpr0
.LBB2_1144:                             ;   in Loop: Header=BB2_900 Depth=2
	s_andn2_saveexec_b64 s[74:75], s[74:75]
; %bb.1145:                             ;   in Loop: Header=BB2_900 Depth=2
	v_cmp_gt_i16_sdwa vcc, sext(v17), v7 src0_sel:BYTE_0 src1_sel:DWORD
	v_cndmask_b32_e32 v2, v8, v54, vcc
	v_cmp_eq_u32_e32 vcc, 0, v0
	v_cndmask_b32_e32 v27, v55, v2, vcc
; %bb.1146:                             ;   in Loop: Header=BB2_900 Depth=2
	s_or_b64 exec, exec, s[74:75]
.LBB2_1147:                             ;   in Loop: Header=BB2_900 Depth=2
	s_or_b64 exec, exec, s[72:73]
.LBB2_1148:                             ;   in Loop: Header=BB2_900 Depth=2
	s_or_b64 exec, exec, s[16:17]
	v_lshl_or_b32 v0, v23, 8, v10
	v_lshlrev_b32_e32 v2, 16, v31
	v_lshlrev_b32_e32 v18, 24, v36
	v_or3_b32 v2, v2, v18, v0
	v_cmp_ne_u32_e32 vcc, 0, v10
	s_and_saveexec_b64 s[72:73], vcc
	s_cbranch_execz .LBB2_1156
; %bb.1149:                             ;   in Loop: Header=BB2_900 Depth=2
	v_cmp_ne_u32_e32 vcc, s48, v10
	v_bfrev_b32_e32 v28, 1
	s_and_saveexec_b64 s[74:75], vcc
	s_cbranch_execz .LBB2_1155
; %bb.1150:                             ;   in Loop: Header=BB2_900 Depth=2
	v_and_b32_e32 v23, 0x7c, v10
	v_and_b32_e32 v18, 3, v10
	v_cmp_ne_u32_e32 vcc, s39, v23
                                        ; implicit-def: $vgpr28
	s_and_saveexec_b64 s[16:17], vcc
	s_xor_b64 s[16:17], exec, s[16:17]
	s_cbranch_execz .LBB2_1152
; %bb.1151:                             ;   in Loop: Header=BB2_900 Depth=2
	v_ffbh_u32_e32 v28, v18
	v_min_u32_e32 v31, 32, v28
	v_subrev_u32_e32 v28, 29, v31
	v_bfe_u32 v23, v10, 2, 5
	v_lshlrev_b64 v[28:29], v28, v[2:3]
	v_sub_u32_e32 v29, 30, v31
	v_cmp_eq_u32_e32 vcc, 0, v23
	v_lshlrev_b32_e32 v10, 24, v10
	v_and_b32_e32 v28, 3, v28
	v_cndmask_b32_e32 v23, v23, v29, vcc
	v_and_b32_e32 v10, 0x80000000, v10
	v_cndmask_b32_e32 v18, v18, v28, vcc
	v_lshl_add_u32 v10, v23, 23, v10
	v_lshl_or_b32 v10, v18, 21, v10
	v_add_u32_e32 v28, 0x38000000, v10
                                        ; implicit-def: $vgpr18
                                        ; implicit-def: $vgpr10
.LBB2_1152:                             ;   in Loop: Header=BB2_900 Depth=2
	s_andn2_saveexec_b64 s[76:77], s[16:17]
; %bb.1153:                             ;   in Loop: Header=BB2_900 Depth=2
	v_and_b32_e32 v10, 0x80, v10
	v_cmp_eq_u32_e64 s[16:17], 0, v10
	v_cmp_eq_u32_e32 vcc, 0, v18
	v_cndmask_b32_e64 v10, v8, v54, s[16:17]
	v_cndmask_b32_e32 v28, v55, v10, vcc
; %bb.1154:                             ;   in Loop: Header=BB2_900 Depth=2
	s_or_b64 exec, exec, s[76:77]
.LBB2_1155:                             ;   in Loop: Header=BB2_900 Depth=2
	s_or_b64 exec, exec, s[74:75]
.LBB2_1156:                             ;   in Loop: Header=BB2_900 Depth=2
	s_or_b64 exec, exec, s[72:73]
	v_add_f32_e32 v23, v27, v28
	v_and_b32_e32 v28, 0x7f800000, v23
	v_mov_b32_e32 v29, v3
	v_cmp_ne_u64_e32 vcc, s[56:57], v[28:29]
	v_and_b32_e32 v27, 0x7fffff, v23
	v_mov_b32_e32 v28, v3
                                        ; implicit-def: $vgpr10
	s_and_saveexec_b64 s[16:17], vcc
	s_xor_b64 s[72:73], exec, s[16:17]
	s_cbranch_execz .LBB2_1170
; %bb.1157:                             ;   in Loop: Header=BB2_900 Depth=2
	v_and_b32_e32 v36, 0x7fffffff, v23
	v_mov_b32_e32 v37, v3
	v_cmp_gt_u64_e32 vcc, s[58:59], v[36:37]
	v_and_b32_sdwa v18, v23, s48 dst_sel:DWORD dst_unused:UNUSED_PAD src0_sel:BYTE_3 src1_sel:DWORD
                                        ; implicit-def: $vgpr10
	s_and_saveexec_b64 s[16:17], vcc
	s_xor_b64 s[74:75], exec, s[16:17]
	s_cbranch_execz .LBB2_1167
; %bb.1158:                             ;   in Loop: Header=BB2_900 Depth=2
	v_mov_b32_e32 v10, 0
	v_cmp_ne_u32_e32 vcc, 0, v23
	s_and_saveexec_b64 s[76:77], vcc
	s_cbranch_execz .LBB2_1166
; %bb.1159:                             ;   in Loop: Header=BB2_900 Depth=2
	v_bfe_u32 v10, v23, 23, 8
	v_cmp_gt_u32_e64 s[16:17], s49, v10
	v_sub_u32_e32 v23, 0x71, v10
	v_cmp_eq_u32_e32 vcc, 0, v10
	v_cndmask_b32_e64 v23, 0, v23, s[16:17]
	v_or_b32_e32 v29, 0x800000, v27
	v_cndmask_b32_e32 v23, v23, v12, vcc
	v_cndmask_b32_e32 v27, v29, v27, vcc
	v_add_u32_e32 v29, 21, v23
	v_lshlrev_b64 v[36:37], v29, -1
	v_add_u32_e32 v29, 20, v23
	v_bfi_b32 v36, v36, 0, v27
	v_lshlrev_b64 v[38:39], v29, 1
	v_lshrrev_b64 v[27:28], v23, v[27:28]
	v_bfi_b32 v37, v37, 0, 0
	v_cmp_eq_u64_e64 s[16:17], v[36:37], v[38:39]
	v_mov_b32_e32 v29, v28
	v_mov_b32_e32 v28, v27
	s_and_saveexec_b64 s[78:79], s[16:17]
; %bb.1160:                             ;   in Loop: Header=BB2_900 Depth=2
	v_bfe_u32 v28, v27, 21, 1
	v_add_co_u32_e64 v28, s[16:17], v27, v28
	v_add_co_u32_e64 v28, s[16:17], -1, v28
; %bb.1161:                             ;   in Loop: Header=BB2_900 Depth=2
	s_or_b64 exec, exec, s[78:79]
	v_add_u32_e32 v10, 0xffffff81, v10
	v_cndmask_b32_e32 v10, v10, v48, vcc
	v_lshrrev_b32_e32 v29, 23, v27
	v_add3_u32 v29, v23, v10, v29
	v_add_u32_e32 v23, 14, v29
	v_and_b32_e32 v10, 0x1fffff, v28
	v_add_u32_e32 v27, v10, v27
	v_mov_b32_e32 v28, v3
	v_cmp_ne_u32_e32 vcc, 0, v23
                                        ; implicit-def: $vgpr10
	s_and_saveexec_b64 s[16:17], vcc
	s_xor_b64 s[16:17], exec, s[16:17]
; %bb.1162:                             ;   in Loop: Header=BB2_900 Depth=2
	v_cmp_lt_u64_e32 vcc, s[60:61], v[27:28]
	v_add_u32_e32 v10, 15, v29
	v_cndmask_b32_e32 v10, v23, v10, vcc
	v_cndmask_b32_e64 v23, 0, 1, vcc
	v_lshrrev_b64 v[27:28], v23, v[27:28]
; %bb.1163:                             ;   in Loop: Header=BB2_900 Depth=2
	s_andn2_saveexec_b64 s[16:17], s[16:17]
; %bb.1164:                             ;   in Loop: Header=BB2_900 Depth=2
	v_bfe_u32 v10, v27, 23, 1
; %bb.1165:                             ;   in Loop: Header=BB2_900 Depth=2
	s_or_b64 exec, exec, s[16:17]
	v_lshrrev_b64 v[27:28], 21, v[27:28]
	v_cmp_gt_i32_e32 vcc, 32, v10
	v_cndmask_b32_e32 v28, 0, v28, vcc
	v_cndmask_b32_e32 v27, 3, v27, vcc
	v_cmp_eq_u32_e32 vcc, 0, v10
	v_min_i32_e32 v10, 31, v10
	v_cmp_eq_u64_e64 s[16:17], 0, v[27:28]
	v_lshlrev_b32_e32 v10, 2, v10
	v_and_b32_e32 v10, 0xfc, v10
	v_and_or_b32 v10, v27, 3, v10
	s_and_b64 s[16:17], vcc, s[16:17]
	v_cndmask_b32_e64 v10, v10, 0, s[16:17]
	v_or_b32_e32 v10, v10, v18
.LBB2_1166:                             ;   in Loop: Header=BB2_900 Depth=2
	s_or_b64 exec, exec, s[76:77]
                                        ; implicit-def: $vgpr18
.LBB2_1167:                             ;   in Loop: Header=BB2_900 Depth=2
	s_andn2_saveexec_b64 s[16:17], s[74:75]
; %bb.1168:                             ;   in Loop: Header=BB2_900 Depth=2
	v_or_b32_e32 v10, 0x7b, v18
; %bb.1169:                             ;   in Loop: Header=BB2_900 Depth=2
	s_or_b64 exec, exec, s[16:17]
                                        ; implicit-def: $vgpr23
                                        ; implicit-def: $vgpr27_vgpr28
.LBB2_1170:                             ;   in Loop: Header=BB2_900 Depth=2
	s_andn2_saveexec_b64 s[16:17], s[72:73]
	s_cbranch_execz .LBB2_1176
; %bb.1171:                             ;   in Loop: Header=BB2_900 Depth=2
	v_cmp_ne_u64_e32 vcc, 0, v[27:28]
                                        ; implicit-def: $vgpr10
	s_and_saveexec_b64 s[72:73], vcc
	s_xor_b64 s[72:73], exec, s[72:73]
; %bb.1172:                             ;   in Loop: Header=BB2_900 Depth=2
	v_or_b32_sdwa v10, v23, s50 dst_sel:DWORD dst_unused:UNUSED_PAD src0_sel:BYTE_3 src1_sel:DWORD
                                        ; implicit-def: $vgpr23
; %bb.1173:                             ;   in Loop: Header=BB2_900 Depth=2
	s_andn2_saveexec_b64 s[72:73], s[72:73]
; %bb.1174:                             ;   in Loop: Header=BB2_900 Depth=2
	v_cmp_lt_i32_e32 vcc, -1, v23
	v_cndmask_b32_e32 v10, v49, v11, vcc
; %bb.1175:                             ;   in Loop: Header=BB2_900 Depth=2
	s_or_b64 exec, exec, s[72:73]
.LBB2_1176:                             ;   in Loop: Header=BB2_900 Depth=2
	s_or_b64 exec, exec, s[16:17]
	v_lshrrev_b16_e32 v27, 8, v17
	v_cmp_ne_u16_e32 vcc, 0, v27
	v_mov_b32_e32 v18, 0
	v_mov_b32_e32 v23, 0
	s_and_saveexec_b64 s[16:17], vcc
	s_cbranch_execz .LBB2_1184
; %bb.1177:                             ;   in Loop: Header=BB2_900 Depth=2
	v_cmp_ne_u16_e32 vcc, s48, v27
	v_bfrev_b32_e32 v23, 1
	s_and_saveexec_b64 s[72:73], vcc
	s_cbranch_execz .LBB2_1183
; %bb.1178:                             ;   in Loop: Header=BB2_900 Depth=2
	v_and_b32_e32 v23, 0x7c, v27
	v_and_b32_e32 v29, 3, v27
	v_cmp_ne_u32_e32 vcc, s39, v23
                                        ; implicit-def: $vgpr23
	s_and_saveexec_b64 s[74:75], vcc
	s_xor_b64 s[74:75], exec, s[74:75]
	s_cbranch_execz .LBB2_1180
; %bb.1179:                             ;   in Loop: Header=BB2_900 Depth=2
	v_ffbh_u32_e32 v31, v29
	v_min_u32_e32 v31, 32, v31
	v_mov_b32_e32 v28, v3
	v_subrev_u32_e32 v36, 29, v31
	v_bfe_u32 v23, v27, 2, 5
	v_lshlrev_b64 v[27:28], v36, v[27:28]
	v_sub_u32_e32 v28, 30, v31
	v_cmp_eq_u32_e32 vcc, 0, v23
	v_cndmask_b32_e32 v23, v23, v28, vcc
	v_lshlrev_b32_e32 v28, 16, v17
	v_and_b32_e32 v27, 3, v27
	v_and_b32_e32 v28, 0x80000000, v28
	v_cndmask_b32_e32 v27, v29, v27, vcc
	v_lshl_add_u32 v23, v23, 23, v28
	v_lshl_or_b32 v23, v27, 21, v23
	v_add_u32_e32 v23, 0x38000000, v23
                                        ; implicit-def: $vgpr29
.LBB2_1180:                             ;   in Loop: Header=BB2_900 Depth=2
	s_andn2_saveexec_b64 s[74:75], s[74:75]
; %bb.1181:                             ;   in Loop: Header=BB2_900 Depth=2
	v_cmp_lt_i16_e32 vcc, -1, v17
	v_cndmask_b32_e32 v23, v8, v54, vcc
	v_cmp_eq_u32_e32 vcc, 0, v29
	v_cndmask_b32_e32 v23, v55, v23, vcc
; %bb.1182:                             ;   in Loop: Header=BB2_900 Depth=2
	s_or_b64 exec, exec, s[74:75]
.LBB2_1183:                             ;   in Loop: Header=BB2_900 Depth=2
	s_or_b64 exec, exec, s[72:73]
.LBB2_1184:                             ;   in Loop: Header=BB2_900 Depth=2
	s_or_b64 exec, exec, s[16:17]
	v_lshrrev_b16_e32 v27, 8, v0
	v_cmp_ne_u16_e32 vcc, 0, v27
	s_and_saveexec_b64 s[16:17], vcc
	s_cbranch_execz .LBB2_1192
; %bb.1185:                             ;   in Loop: Header=BB2_900 Depth=2
	v_cmp_ne_u16_e32 vcc, s48, v27
	v_bfrev_b32_e32 v18, 1
	s_and_saveexec_b64 s[72:73], vcc
	s_cbranch_execz .LBB2_1191
; %bb.1186:                             ;   in Loop: Header=BB2_900 Depth=2
	v_and_b32_e32 v18, 0x7c, v27
	v_and_b32_e32 v29, 3, v27
	v_cmp_ne_u32_e32 vcc, s39, v18
                                        ; implicit-def: $vgpr18
	s_and_saveexec_b64 s[74:75], vcc
	s_xor_b64 s[74:75], exec, s[74:75]
	s_cbranch_execz .LBB2_1188
; %bb.1187:                             ;   in Loop: Header=BB2_900 Depth=2
	v_ffbh_u32_e32 v31, v29
	v_min_u32_e32 v31, 32, v31
	v_mov_b32_e32 v28, v3
	v_subrev_u32_e32 v36, 29, v31
	v_bfe_u32 v18, v27, 2, 5
	v_lshlrev_b64 v[27:28], v36, v[27:28]
	v_sub_u32_e32 v28, 30, v31
	v_cmp_eq_u32_e32 vcc, 0, v18
	v_lshlrev_b32_e32 v0, 16, v0
	v_and_b32_e32 v27, 3, v27
	v_cndmask_b32_e32 v18, v18, v28, vcc
	v_and_b32_e32 v0, 0x80000000, v0
	v_cndmask_b32_e32 v27, v29, v27, vcc
	v_lshl_add_u32 v0, v18, 23, v0
	v_lshl_or_b32 v0, v27, 21, v0
	v_add_u32_e32 v18, 0x38000000, v0
                                        ; implicit-def: $vgpr29
                                        ; implicit-def: $vgpr0
.LBB2_1188:                             ;   in Loop: Header=BB2_900 Depth=2
	s_andn2_saveexec_b64 s[74:75], s[74:75]
; %bb.1189:                             ;   in Loop: Header=BB2_900 Depth=2
	v_cmp_lt_i16_e32 vcc, -1, v0
	v_cndmask_b32_e32 v0, v8, v54, vcc
	v_cmp_eq_u32_e32 vcc, 0, v29
	v_cndmask_b32_e32 v18, v55, v0, vcc
; %bb.1190:                             ;   in Loop: Header=BB2_900 Depth=2
	s_or_b64 exec, exec, s[74:75]
.LBB2_1191:                             ;   in Loop: Header=BB2_900 Depth=2
	s_or_b64 exec, exec, s[72:73]
.LBB2_1192:                             ;   in Loop: Header=BB2_900 Depth=2
	s_or_b64 exec, exec, s[16:17]
	v_add_f32_e32 v18, v23, v18
	v_and_b32_e32 v28, 0x7f800000, v18
	v_mov_b32_e32 v29, v3
	v_cmp_ne_u64_e32 vcc, s[56:57], v[28:29]
	v_and_b32_e32 v27, 0x7fffff, v18
	v_mov_b32_e32 v28, v3
                                        ; implicit-def: $vgpr31
	s_and_saveexec_b64 s[16:17], vcc
	s_xor_b64 s[72:73], exec, s[16:17]
	s_cbranch_execz .LBB2_1206
; %bb.1193:                             ;   in Loop: Header=BB2_900 Depth=2
	v_and_b32_e32 v36, 0x7fffffff, v18
	v_mov_b32_e32 v37, v3
	v_cmp_gt_u64_e32 vcc, s[58:59], v[36:37]
	v_and_b32_sdwa v0, v18, s48 dst_sel:DWORD dst_unused:UNUSED_PAD src0_sel:BYTE_3 src1_sel:DWORD
                                        ; implicit-def: $vgpr31
	s_and_saveexec_b64 s[16:17], vcc
	s_xor_b64 s[74:75], exec, s[16:17]
	s_cbranch_execz .LBB2_1203
; %bb.1194:                             ;   in Loop: Header=BB2_900 Depth=2
	v_mov_b32_e32 v31, 0
	v_cmp_ne_u32_e32 vcc, 0, v18
	s_and_saveexec_b64 s[76:77], vcc
	s_cbranch_execz .LBB2_1202
; %bb.1195:                             ;   in Loop: Header=BB2_900 Depth=2
	v_bfe_u32 v18, v18, 23, 8
	v_cmp_gt_u32_e64 s[16:17], s49, v18
	v_sub_u32_e32 v23, 0x71, v18
	v_cmp_eq_u32_e32 vcc, 0, v18
	v_cndmask_b32_e64 v23, 0, v23, s[16:17]
	v_or_b32_e32 v29, 0x800000, v27
	v_cndmask_b32_e32 v23, v23, v12, vcc
	v_cndmask_b32_e32 v27, v29, v27, vcc
	v_add_u32_e32 v29, 21, v23
	v_lshlrev_b64 v[36:37], v29, -1
	v_add_u32_e32 v29, 20, v23
	v_bfi_b32 v36, v36, 0, v27
	v_lshlrev_b64 v[38:39], v29, 1
	v_lshrrev_b64 v[27:28], v23, v[27:28]
	v_bfi_b32 v37, v37, 0, 0
	v_cmp_eq_u64_e64 s[16:17], v[36:37], v[38:39]
	v_mov_b32_e32 v29, v28
	v_mov_b32_e32 v28, v27
	s_and_saveexec_b64 s[78:79], s[16:17]
; %bb.1196:                             ;   in Loop: Header=BB2_900 Depth=2
	v_bfe_u32 v28, v27, 21, 1
	v_add_co_u32_e64 v28, s[16:17], v27, v28
	v_add_co_u32_e64 v28, s[16:17], -1, v28
; %bb.1197:                             ;   in Loop: Header=BB2_900 Depth=2
	s_or_b64 exec, exec, s[78:79]
	v_add_u32_e32 v18, 0xffffff81, v18
	v_cndmask_b32_e32 v18, v18, v48, vcc
	v_lshrrev_b32_e32 v29, 23, v27
	v_add3_u32 v29, v23, v18, v29
	v_add_u32_e32 v23, 14, v29
	v_and_b32_e32 v18, 0x1fffff, v28
	v_add_u32_e32 v27, v18, v27
	v_mov_b32_e32 v28, v3
	v_cmp_ne_u32_e32 vcc, 0, v23
                                        ; implicit-def: $vgpr18
	s_and_saveexec_b64 s[16:17], vcc
	s_xor_b64 s[16:17], exec, s[16:17]
; %bb.1198:                             ;   in Loop: Header=BB2_900 Depth=2
	v_cmp_lt_u64_e32 vcc, s[60:61], v[27:28]
	v_add_u32_e32 v18, 15, v29
	v_cndmask_b32_e32 v18, v23, v18, vcc
	v_cndmask_b32_e64 v23, 0, 1, vcc
	v_lshrrev_b64 v[27:28], v23, v[27:28]
; %bb.1199:                             ;   in Loop: Header=BB2_900 Depth=2
	s_andn2_saveexec_b64 s[16:17], s[16:17]
; %bb.1200:                             ;   in Loop: Header=BB2_900 Depth=2
	v_bfe_u32 v18, v27, 23, 1
; %bb.1201:                             ;   in Loop: Header=BB2_900 Depth=2
	s_or_b64 exec, exec, s[16:17]
	v_lshrrev_b64 v[27:28], 21, v[27:28]
	v_cmp_gt_i32_e32 vcc, 32, v18
	v_cndmask_b32_e32 v28, 0, v28, vcc
	v_cndmask_b32_e32 v27, 3, v27, vcc
	v_cmp_eq_u32_e32 vcc, 0, v18
	v_min_i32_e32 v18, 31, v18
	v_cmp_eq_u64_e64 s[16:17], 0, v[27:28]
	v_lshlrev_b32_e32 v18, 2, v18
	v_and_b32_e32 v18, 0xfc, v18
	v_and_or_b32 v18, v27, 3, v18
	s_and_b64 s[16:17], vcc, s[16:17]
	v_cndmask_b32_e64 v18, v18, 0, s[16:17]
	v_or_b32_e32 v31, v18, v0
.LBB2_1202:                             ;   in Loop: Header=BB2_900 Depth=2
	s_or_b64 exec, exec, s[76:77]
                                        ; implicit-def: $vgpr0
.LBB2_1203:                             ;   in Loop: Header=BB2_900 Depth=2
	s_andn2_saveexec_b64 s[16:17], s[74:75]
; %bb.1204:                             ;   in Loop: Header=BB2_900 Depth=2
	v_or_b32_e32 v31, 0x7b, v0
; %bb.1205:                             ;   in Loop: Header=BB2_900 Depth=2
	s_or_b64 exec, exec, s[16:17]
                                        ; implicit-def: $vgpr18
                                        ; implicit-def: $vgpr27_vgpr28
.LBB2_1206:                             ;   in Loop: Header=BB2_900 Depth=2
	s_andn2_saveexec_b64 s[16:17], s[72:73]
	s_cbranch_execz .LBB2_1212
; %bb.1207:                             ;   in Loop: Header=BB2_900 Depth=2
	v_cmp_ne_u64_e32 vcc, 0, v[27:28]
                                        ; implicit-def: $vgpr31
	s_and_saveexec_b64 s[72:73], vcc
	s_xor_b64 s[72:73], exec, s[72:73]
; %bb.1208:                             ;   in Loop: Header=BB2_900 Depth=2
	v_or_b32_sdwa v31, v18, s50 dst_sel:DWORD dst_unused:UNUSED_PAD src0_sel:BYTE_3 src1_sel:DWORD
                                        ; implicit-def: $vgpr18
; %bb.1209:                             ;   in Loop: Header=BB2_900 Depth=2
	s_andn2_saveexec_b64 s[72:73], s[72:73]
; %bb.1210:                             ;   in Loop: Header=BB2_900 Depth=2
	v_cmp_lt_i32_e32 vcc, -1, v18
	v_cndmask_b32_e32 v31, v49, v11, vcc
; %bb.1211:                             ;   in Loop: Header=BB2_900 Depth=2
	s_or_b64 exec, exec, s[72:73]
.LBB2_1212:                             ;   in Loop: Header=BB2_900 Depth=2
	s_or_b64 exec, exec, s[16:17]
	v_lshrrev_b32_e32 v0, 16, v17
	v_cmp_ne_u16_sdwa s[72:73], v0, v3 src0_sel:BYTE_0 src1_sel:DWORD
	v_mov_b32_e32 v23, 0
	v_mov_b32_e32 v18, 0
	s_and_saveexec_b64 s[16:17], s[72:73]
	s_cbranch_execz .LBB2_1220
; %bb.1213:                             ;   in Loop: Header=BB2_900 Depth=2
	v_cmp_ne_u16_sdwa s[74:75], v0, s48 src0_sel:BYTE_0 src1_sel:DWORD
	v_bfrev_b32_e32 v18, 1
	s_and_saveexec_b64 s[72:73], s[74:75]
	s_cbranch_execz .LBB2_1219
; %bb.1214:                             ;   in Loop: Header=BB2_900 Depth=2
	v_and_b32_e32 v18, 0x7c0000, v17
	v_bfe_u32 v27, v17, 16, 2
	v_cmp_ne_u32_e32 vcc, s51, v18
                                        ; implicit-def: $vgpr18
	s_and_saveexec_b64 s[74:75], vcc
	s_xor_b64 s[74:75], exec, s[74:75]
	s_cbranch_execz .LBB2_1216
; %bb.1215:                             ;   in Loop: Header=BB2_900 Depth=2
	v_ffbh_u32_e32 v28, v27
	v_min_u32_e32 v36, 32, v28
	v_subrev_u32_e32 v28, 29, v36
	v_lshlrev_b64 v[28:29], v28, v[0:1]
	v_bfe_u32 v18, v17, 18, 5
	v_sub_u32_e32 v0, 30, v36
	v_and_b32_e32 v28, 3, v28
	v_cmp_eq_u32_e32 vcc, 0, v18
	v_cndmask_b32_e32 v0, v18, v0, vcc
	v_cndmask_b32_e32 v18, v27, v28, vcc
	v_lshlrev_b32_e32 v27, 8, v17
	v_and_b32_e32 v27, 0x80000000, v27
	v_lshl_add_u32 v0, v0, 23, v27
	v_lshl_or_b32 v0, v18, 21, v0
	v_add_u32_e32 v18, 0x38000000, v0
                                        ; implicit-def: $vgpr27
                                        ; implicit-def: $vgpr0
.LBB2_1216:                             ;   in Loop: Header=BB2_900 Depth=2
	s_andn2_saveexec_b64 s[74:75], s[74:75]
; %bb.1217:                             ;   in Loop: Header=BB2_900 Depth=2
	v_cmp_gt_i16_sdwa vcc, sext(v0), v7 src0_sel:BYTE_0 src1_sel:DWORD
	v_cndmask_b32_e32 v0, v8, v54, vcc
	v_cmp_eq_u32_e32 vcc, 0, v27
	v_cndmask_b32_e32 v18, v55, v0, vcc
; %bb.1218:                             ;   in Loop: Header=BB2_900 Depth=2
	s_or_b64 exec, exec, s[74:75]
.LBB2_1219:                             ;   in Loop: Header=BB2_900 Depth=2
	s_or_b64 exec, exec, s[72:73]
.LBB2_1220:                             ;   in Loop: Header=BB2_900 Depth=2
	s_or_b64 exec, exec, s[16:17]
	v_and_b32_sdwa v27, v2, s37 dst_sel:DWORD dst_unused:UNUSED_PAD src0_sel:WORD_1 src1_sel:DWORD
	v_lshrrev_b32_e32 v0, 16, v2
	v_cmp_ne_u16_e32 vcc, 0, v27
	s_and_saveexec_b64 s[16:17], vcc
	s_cbranch_execz .LBB2_1228
; %bb.1221:                             ;   in Loop: Header=BB2_900 Depth=2
	v_cmp_ne_u16_e32 vcc, s48, v27
	v_bfrev_b32_e32 v23, 1
	s_and_saveexec_b64 s[72:73], vcc
	s_cbranch_execz .LBB2_1227
; %bb.1222:                             ;   in Loop: Header=BB2_900 Depth=2
	v_and_b32_e32 v23, 0x7c0000, v2
	v_bfe_u32 v27, v2, 16, 2
	v_cmp_ne_u32_e32 vcc, s51, v23
                                        ; implicit-def: $vgpr23
	s_and_saveexec_b64 s[74:75], vcc
	s_xor_b64 s[74:75], exec, s[74:75]
	s_cbranch_execz .LBB2_1224
; %bb.1223:                             ;   in Loop: Header=BB2_900 Depth=2
	v_ffbh_u32_e32 v28, v27
	v_min_u32_e32 v36, 32, v28
	v_lshrrev_b32_e32 v0, 16, v2
	v_subrev_u32_e32 v28, 29, v36
	v_lshlrev_b64 v[28:29], v28, v[0:1]
	v_bfe_u32 v23, v2, 18, 5
	v_sub_u32_e32 v0, 30, v36
	v_and_b32_e32 v28, 3, v28
	v_cmp_eq_u32_e32 vcc, 0, v23
	v_cndmask_b32_e32 v0, v23, v0, vcc
	v_cndmask_b32_e32 v23, v27, v28, vcc
	v_lshlrev_b32_e32 v27, 8, v2
	v_and_b32_e32 v27, 0x80000000, v27
	v_lshl_add_u32 v0, v0, 23, v27
	v_lshl_or_b32 v0, v23, 21, v0
	v_add_u32_e32 v23, 0x38000000, v0
                                        ; implicit-def: $vgpr27
                                        ; implicit-def: $vgpr0
.LBB2_1224:                             ;   in Loop: Header=BB2_900 Depth=2
	s_andn2_saveexec_b64 s[74:75], s[74:75]
; %bb.1225:                             ;   in Loop: Header=BB2_900 Depth=2
	v_cmp_gt_i16_sdwa vcc, sext(v0), v7 src0_sel:BYTE_0 src1_sel:DWORD
	v_cndmask_b32_e32 v0, v8, v54, vcc
	v_cmp_eq_u32_e32 vcc, 0, v27
	v_cndmask_b32_e32 v23, v55, v0, vcc
; %bb.1226:                             ;   in Loop: Header=BB2_900 Depth=2
	s_or_b64 exec, exec, s[74:75]
.LBB2_1227:                             ;   in Loop: Header=BB2_900 Depth=2
	s_or_b64 exec, exec, s[72:73]
.LBB2_1228:                             ;   in Loop: Header=BB2_900 Depth=2
	s_or_b64 exec, exec, s[16:17]
	v_add_f32_e32 v18, v18, v23
	v_and_b32_e32 v28, 0x7f800000, v18
	v_mov_b32_e32 v29, v3
	v_cmp_ne_u64_e32 vcc, s[56:57], v[28:29]
	v_and_b32_e32 v27, 0x7fffff, v18
	v_mov_b32_e32 v28, v3
                                        ; implicit-def: $vgpr29
	s_and_saveexec_b64 s[16:17], vcc
	s_xor_b64 s[72:73], exec, s[16:17]
	s_cbranch_execz .LBB2_1242
; %bb.1229:                             ;   in Loop: Header=BB2_900 Depth=2
	v_and_b32_e32 v36, 0x7fffffff, v18
	v_mov_b32_e32 v37, v3
	v_cmp_gt_u64_e32 vcc, s[58:59], v[36:37]
	v_and_b32_sdwa v0, v18, s48 dst_sel:DWORD dst_unused:UNUSED_PAD src0_sel:BYTE_3 src1_sel:DWORD
                                        ; implicit-def: $vgpr29
	s_and_saveexec_b64 s[16:17], vcc
	s_xor_b64 s[74:75], exec, s[16:17]
	s_cbranch_execz .LBB2_1239
; %bb.1230:                             ;   in Loop: Header=BB2_900 Depth=2
	v_mov_b32_e32 v29, 0
	v_cmp_ne_u32_e32 vcc, 0, v18
	s_and_saveexec_b64 s[76:77], vcc
	s_cbranch_execz .LBB2_1238
; %bb.1231:                             ;   in Loop: Header=BB2_900 Depth=2
	v_bfe_u32 v18, v18, 23, 8
	v_cmp_gt_u32_e64 s[16:17], s49, v18
	v_sub_u32_e32 v23, 0x71, v18
	v_cmp_eq_u32_e32 vcc, 0, v18
	v_cndmask_b32_e64 v23, 0, v23, s[16:17]
	v_or_b32_e32 v29, 0x800000, v27
	v_cndmask_b32_e32 v23, v23, v12, vcc
	v_cndmask_b32_e32 v27, v29, v27, vcc
	v_add_u32_e32 v29, 21, v23
	v_lshlrev_b64 v[36:37], v29, -1
	v_add_u32_e32 v29, 20, v23
	v_bfi_b32 v36, v36, 0, v27
	v_lshlrev_b64 v[38:39], v29, 1
	v_lshrrev_b64 v[27:28], v23, v[27:28]
	v_bfi_b32 v37, v37, 0, 0
	v_cmp_eq_u64_e64 s[16:17], v[36:37], v[38:39]
	v_mov_b32_e32 v29, v28
	v_mov_b32_e32 v28, v27
	s_and_saveexec_b64 s[78:79], s[16:17]
; %bb.1232:                             ;   in Loop: Header=BB2_900 Depth=2
	v_bfe_u32 v28, v27, 21, 1
	v_add_co_u32_e64 v28, s[16:17], v27, v28
	v_add_co_u32_e64 v28, s[16:17], -1, v28
; %bb.1233:                             ;   in Loop: Header=BB2_900 Depth=2
	s_or_b64 exec, exec, s[78:79]
	v_add_u32_e32 v18, 0xffffff81, v18
	v_cndmask_b32_e32 v18, v18, v48, vcc
	v_lshrrev_b32_e32 v29, 23, v27
	v_add3_u32 v29, v23, v18, v29
	v_add_u32_e32 v23, 14, v29
	v_and_b32_e32 v18, 0x1fffff, v28
	v_add_u32_e32 v27, v18, v27
	v_mov_b32_e32 v28, v3
	v_cmp_ne_u32_e32 vcc, 0, v23
                                        ; implicit-def: $vgpr18
	s_and_saveexec_b64 s[16:17], vcc
	s_xor_b64 s[16:17], exec, s[16:17]
; %bb.1234:                             ;   in Loop: Header=BB2_900 Depth=2
	v_cmp_lt_u64_e32 vcc, s[60:61], v[27:28]
	v_add_u32_e32 v18, 15, v29
	v_cndmask_b32_e32 v18, v23, v18, vcc
	v_cndmask_b32_e64 v23, 0, 1, vcc
	v_lshrrev_b64 v[27:28], v23, v[27:28]
; %bb.1235:                             ;   in Loop: Header=BB2_900 Depth=2
	s_andn2_saveexec_b64 s[16:17], s[16:17]
; %bb.1236:                             ;   in Loop: Header=BB2_900 Depth=2
	v_bfe_u32 v18, v27, 23, 1
; %bb.1237:                             ;   in Loop: Header=BB2_900 Depth=2
	s_or_b64 exec, exec, s[16:17]
	v_lshrrev_b64 v[27:28], 21, v[27:28]
	v_cmp_gt_i32_e32 vcc, 32, v18
	v_cndmask_b32_e32 v28, 0, v28, vcc
	v_cndmask_b32_e32 v27, 3, v27, vcc
	v_cmp_eq_u32_e32 vcc, 0, v18
	v_min_i32_e32 v18, 31, v18
	v_cmp_eq_u64_e64 s[16:17], 0, v[27:28]
	v_lshlrev_b32_e32 v18, 2, v18
	v_and_b32_e32 v18, 0xfc, v18
	v_and_or_b32 v18, v27, 3, v18
	s_and_b64 s[16:17], vcc, s[16:17]
	v_cndmask_b32_e64 v18, v18, 0, s[16:17]
	v_or_b32_e32 v29, v18, v0
.LBB2_1238:                             ;   in Loop: Header=BB2_900 Depth=2
	s_or_b64 exec, exec, s[76:77]
                                        ; implicit-def: $vgpr0
.LBB2_1239:                             ;   in Loop: Header=BB2_900 Depth=2
	s_andn2_saveexec_b64 s[16:17], s[74:75]
; %bb.1240:                             ;   in Loop: Header=BB2_900 Depth=2
	v_or_b32_e32 v29, 0x7b, v0
; %bb.1241:                             ;   in Loop: Header=BB2_900 Depth=2
	s_or_b64 exec, exec, s[16:17]
                                        ; implicit-def: $vgpr18
                                        ; implicit-def: $vgpr27_vgpr28
.LBB2_1242:                             ;   in Loop: Header=BB2_900 Depth=2
	s_andn2_saveexec_b64 s[16:17], s[72:73]
	s_cbranch_execz .LBB2_1248
; %bb.1243:                             ;   in Loop: Header=BB2_900 Depth=2
	v_cmp_ne_u64_e32 vcc, 0, v[27:28]
                                        ; implicit-def: $vgpr29
	s_and_saveexec_b64 s[72:73], vcc
	s_xor_b64 s[72:73], exec, s[72:73]
; %bb.1244:                             ;   in Loop: Header=BB2_900 Depth=2
	v_or_b32_sdwa v29, v18, s50 dst_sel:DWORD dst_unused:UNUSED_PAD src0_sel:BYTE_3 src1_sel:DWORD
                                        ; implicit-def: $vgpr18
; %bb.1245:                             ;   in Loop: Header=BB2_900 Depth=2
	s_andn2_saveexec_b64 s[72:73], s[72:73]
; %bb.1246:                             ;   in Loop: Header=BB2_900 Depth=2
	v_cmp_lt_i32_e32 vcc, -1, v18
	v_cndmask_b32_e32 v29, v49, v11, vcc
; %bb.1247:                             ;   in Loop: Header=BB2_900 Depth=2
	s_or_b64 exec, exec, s[72:73]
.LBB2_1248:                             ;   in Loop: Header=BB2_900 Depth=2
	s_or_b64 exec, exec, s[16:17]
	v_cmp_lt_u32_e32 vcc, s47, v17
	v_mov_b32_e32 v18, 0
	v_mov_b32_e32 v23, 0
	s_and_saveexec_b64 s[16:17], vcc
	s_cbranch_execz .LBB2_1256
; %bb.1249:                             ;   in Loop: Header=BB2_900 Depth=2
	v_lshrrev_b32_e32 v0, 24, v17
	v_cmp_ne_u32_e32 vcc, s48, v0
	v_bfrev_b32_e32 v23, 1
	s_and_saveexec_b64 s[72:73], vcc
	s_cbranch_execz .LBB2_1255
; %bb.1250:                             ;   in Loop: Header=BB2_900 Depth=2
	v_and_b32_e32 v23, 0x7c000000, v17
	v_bfe_u32 v27, v17, 24, 2
	v_cmp_ne_u32_e32 vcc, s52, v23
                                        ; implicit-def: $vgpr23
	s_and_saveexec_b64 s[74:75], vcc
	s_xor_b64 s[74:75], exec, s[74:75]
	s_cbranch_execz .LBB2_1252
; %bb.1251:                             ;   in Loop: Header=BB2_900 Depth=2
	v_ffbh_u32_e32 v28, v27
	v_min_u32_e32 v28, 32, v28
	v_subrev_u32_e32 v36, 29, v28
	v_bfe_u32 v23, v17, 26, 5
	v_lshlrev_b64 v[36:37], v36, v[0:1]
	v_sub_u32_e32 v0, 30, v28
	v_cmp_eq_u32_e32 vcc, 0, v23
	v_and_b32_e32 v28, 3, v36
	v_cndmask_b32_e32 v0, v23, v0, vcc
	v_and_b32_e32 v17, 0x80000000, v17
	v_cndmask_b32_e32 v23, v27, v28, vcc
	v_lshl_add_u32 v0, v0, 23, v17
	v_lshl_or_b32 v0, v23, 21, v0
	v_add_u32_e32 v23, 0x38000000, v0
                                        ; implicit-def: $vgpr27
.LBB2_1252:                             ;   in Loop: Header=BB2_900 Depth=2
	s_andn2_saveexec_b64 s[74:75], s[74:75]
; %bb.1253:                             ;   in Loop: Header=BB2_900 Depth=2
	v_cmp_lt_i32_e32 vcc, -1, v17
	v_cndmask_b32_e32 v0, v8, v54, vcc
	v_cmp_eq_u32_e32 vcc, 0, v27
	v_cndmask_b32_e32 v23, v55, v0, vcc
; %bb.1254:                             ;   in Loop: Header=BB2_900 Depth=2
	s_or_b64 exec, exec, s[74:75]
.LBB2_1255:                             ;   in Loop: Header=BB2_900 Depth=2
	s_or_b64 exec, exec, s[72:73]
.LBB2_1256:                             ;   in Loop: Header=BB2_900 Depth=2
	s_or_b64 exec, exec, s[16:17]
	v_cmp_lt_u32_e32 vcc, s47, v2
	s_and_saveexec_b64 s[16:17], vcc
	s_cbranch_execz .LBB2_1264
; %bb.1257:                             ;   in Loop: Header=BB2_900 Depth=2
	v_lshrrev_b32_e32 v0, 24, v2
	v_cmp_ne_u32_e32 vcc, s48, v0
	v_bfrev_b32_e32 v18, 1
	s_and_saveexec_b64 s[72:73], vcc
	s_cbranch_execz .LBB2_1263
; %bb.1258:                             ;   in Loop: Header=BB2_900 Depth=2
	v_and_b32_e32 v18, 0x7c000000, v2
	v_bfe_u32 v17, v2, 24, 2
	v_cmp_ne_u32_e32 vcc, s52, v18
                                        ; implicit-def: $vgpr18
	s_and_saveexec_b64 s[74:75], vcc
	s_xor_b64 s[74:75], exec, s[74:75]
	s_cbranch_execz .LBB2_1260
; %bb.1259:                             ;   in Loop: Header=BB2_900 Depth=2
	v_ffbh_u32_e32 v27, v17
	v_min_u32_e32 v36, 32, v27
	v_subrev_u32_e32 v27, 29, v36
	v_bfe_u32 v18, v2, 26, 5
	v_lshlrev_b64 v[27:28], v27, v[0:1]
	v_sub_u32_e32 v0, 30, v36
	v_cmp_eq_u32_e32 vcc, 0, v18
	v_and_b32_e32 v27, 3, v27
	v_cndmask_b32_e32 v0, v18, v0, vcc
	v_and_b32_e32 v2, 0x80000000, v2
	v_cndmask_b32_e32 v17, v17, v27, vcc
	v_lshl_add_u32 v0, v0, 23, v2
	v_lshl_or_b32 v0, v17, 21, v0
	v_add_u32_e32 v18, 0x38000000, v0
                                        ; implicit-def: $vgpr17
.LBB2_1260:                             ;   in Loop: Header=BB2_900 Depth=2
	s_andn2_saveexec_b64 s[74:75], s[74:75]
; %bb.1261:                             ;   in Loop: Header=BB2_900 Depth=2
	v_cmp_lt_i32_e32 vcc, -1, v2
	v_cndmask_b32_e32 v0, v8, v54, vcc
	v_cmp_eq_u32_e32 vcc, 0, v17
	v_cndmask_b32_e32 v18, v55, v0, vcc
; %bb.1262:                             ;   in Loop: Header=BB2_900 Depth=2
	s_or_b64 exec, exec, s[74:75]
.LBB2_1263:                             ;   in Loop: Header=BB2_900 Depth=2
	s_or_b64 exec, exec, s[72:73]
.LBB2_1264:                             ;   in Loop: Header=BB2_900 Depth=2
	s_or_b64 exec, exec, s[16:17]
	v_add_f32_e32 v17, v23, v18
	v_and_b32_e32 v27, 0x7f800000, v17
	v_mov_b32_e32 v28, v3
	v_cmp_ne_u64_e32 vcc, s[56:57], v[27:28]
	v_and_b32_e32 v2, 0x7fffff, v17
                                        ; implicit-def: $vgpr23
	s_and_saveexec_b64 s[16:17], vcc
	s_xor_b64 s[72:73], exec, s[16:17]
	s_cbranch_execz .LBB2_1278
; %bb.1265:                             ;   in Loop: Header=BB2_900 Depth=2
	v_and_b32_e32 v27, 0x7fffffff, v17
	v_mov_b32_e32 v28, v3
	v_cmp_gt_u64_e32 vcc, s[58:59], v[27:28]
	v_and_b32_sdwa v0, v17, s48 dst_sel:DWORD dst_unused:UNUSED_PAD src0_sel:BYTE_3 src1_sel:DWORD
                                        ; implicit-def: $vgpr23
	s_and_saveexec_b64 s[16:17], vcc
	s_xor_b64 s[74:75], exec, s[16:17]
	s_cbranch_execz .LBB2_1275
; %bb.1266:                             ;   in Loop: Header=BB2_900 Depth=2
	v_mov_b32_e32 v23, 0
	v_cmp_ne_u32_e32 vcc, 0, v17
	s_and_saveexec_b64 s[76:77], vcc
	s_cbranch_execz .LBB2_1274
; %bb.1267:                             ;   in Loop: Header=BB2_900 Depth=2
	v_bfe_u32 v23, v17, 23, 8
	v_cmp_gt_u32_e64 s[16:17], s49, v23
	v_sub_u32_e32 v17, 0x71, v23
	v_cmp_eq_u32_e32 vcc, 0, v23
	v_cndmask_b32_e64 v17, 0, v17, s[16:17]
	v_cndmask_b32_e32 v36, v17, v12, vcc
	v_or_b32_e32 v18, 0x800000, v2
	v_add_u32_e32 v17, 21, v36
	v_cndmask_b32_e32 v2, v18, v2, vcc
	v_lshlrev_b64 v[17:18], v17, -1
	v_add_u32_e32 v27, 20, v36
	v_lshlrev_b64 v[27:28], v27, 1
	v_bfi_b32 v18, v18, 0, 0
	v_bfi_b32 v17, v17, 0, v2
	v_cmp_eq_u64_e64 s[16:17], v[17:18], v[27:28]
	v_lshrrev_b64 v[17:18], v36, v[2:3]
	v_mov_b32_e32 v28, v18
	v_mov_b32_e32 v27, v17
	s_and_saveexec_b64 s[78:79], s[16:17]
; %bb.1268:                             ;   in Loop: Header=BB2_900 Depth=2
	v_bfe_u32 v2, v17, 21, 1
	v_add_co_u32_e64 v2, s[16:17], v17, v2
	v_add_co_u32_e64 v27, s[16:17], -1, v2
; %bb.1269:                             ;   in Loop: Header=BB2_900 Depth=2
	s_or_b64 exec, exec, s[78:79]
	v_add_u32_e32 v2, 0xffffff81, v23
	v_cndmask_b32_e32 v2, v2, v48, vcc
	v_lshrrev_b32_e32 v18, 23, v17
	v_add3_u32 v36, v36, v2, v18
	v_add_u32_e32 v28, 14, v36
	v_and_b32_e32 v2, 0x1fffff, v27
	v_add_u32_e32 v2, v2, v17
	v_cmp_ne_u32_e32 vcc, 0, v28
                                        ; implicit-def: $vgpr17_vgpr18
                                        ; implicit-def: $vgpr23
	s_and_saveexec_b64 s[16:17], vcc
	s_xor_b64 s[16:17], exec, s[16:17]
; %bb.1270:                             ;   in Loop: Header=BB2_900 Depth=2
	v_cmp_lt_u64_e32 vcc, s[60:61], v[2:3]
	v_add_u32_e32 v17, 15, v36
	v_cndmask_b32_e32 v23, v28, v17, vcc
	v_cndmask_b32_e64 v17, 0, 1, vcc
	v_lshrrev_b64 v[17:18], v17, v[2:3]
; %bb.1271:                             ;   in Loop: Header=BB2_900 Depth=2
	s_andn2_saveexec_b64 s[16:17], s[16:17]
; %bb.1272:                             ;   in Loop: Header=BB2_900 Depth=2
	v_mov_b32_e32 v18, v3
	v_bfe_u32 v23, v2, 23, 1
	v_mov_b32_e32 v17, v2
; %bb.1273:                             ;   in Loop: Header=BB2_900 Depth=2
	s_or_b64 exec, exec, s[16:17]
	v_lshrrev_b64 v[17:18], 21, v[17:18]
	v_cmp_gt_i32_e32 vcc, 32, v23
	v_cndmask_b32_e32 v18, 0, v18, vcc
	v_cndmask_b32_e32 v17, 3, v17, vcc
	v_min_i32_e32 v2, 31, v23
	v_cmp_eq_u64_e64 s[16:17], 0, v[17:18]
	v_lshlrev_b32_e32 v2, 2, v2
	v_cmp_eq_u32_e32 vcc, 0, v23
	v_and_b32_e32 v2, 0xfc, v2
	v_and_or_b32 v2, v17, 3, v2
	s_and_b64 s[16:17], vcc, s[16:17]
	v_cndmask_b32_e64 v2, v2, 0, s[16:17]
	v_or_b32_e32 v23, v2, v0
.LBB2_1274:                             ;   in Loop: Header=BB2_900 Depth=2
	s_or_b64 exec, exec, s[76:77]
                                        ; implicit-def: $vgpr0
.LBB2_1275:                             ;   in Loop: Header=BB2_900 Depth=2
	s_andn2_saveexec_b64 s[16:17], s[74:75]
; %bb.1276:                             ;   in Loop: Header=BB2_900 Depth=2
	v_or_b32_e32 v23, 0x7b, v0
; %bb.1277:                             ;   in Loop: Header=BB2_900 Depth=2
	s_or_b64 exec, exec, s[16:17]
                                        ; implicit-def: $vgpr17
.LBB2_1278:                             ;   in Loop: Header=BB2_900 Depth=2
	s_andn2_saveexec_b64 s[16:17], s[72:73]
	s_cbranch_execz .LBB2_1284
; %bb.1279:                             ;   in Loop: Header=BB2_900 Depth=2
	v_cmp_ne_u64_e32 vcc, 0, v[2:3]
                                        ; implicit-def: $vgpr23
	s_and_saveexec_b64 s[72:73], vcc
	s_xor_b64 s[72:73], exec, s[72:73]
; %bb.1280:                             ;   in Loop: Header=BB2_900 Depth=2
	v_or_b32_sdwa v23, v17, s50 dst_sel:DWORD dst_unused:UNUSED_PAD src0_sel:BYTE_3 src1_sel:DWORD
                                        ; implicit-def: $vgpr17
; %bb.1281:                             ;   in Loop: Header=BB2_900 Depth=2
	s_andn2_saveexec_b64 s[72:73], s[72:73]
; %bb.1282:                             ;   in Loop: Header=BB2_900 Depth=2
	v_cmp_lt_i32_e32 vcc, -1, v17
	v_cndmask_b32_e32 v23, v49, v11, vcc
; %bb.1283:                             ;   in Loop: Header=BB2_900 Depth=2
	s_or_b64 exec, exec, s[72:73]
.LBB2_1284:                             ;   in Loop: Header=BB2_900 Depth=2
	s_or_b64 exec, exec, s[16:17]
	v_cmp_ne_u16_sdwa s[72:73], v19, v3 src0_sel:BYTE_0 src1_sel:DWORD
	v_mov_b32_e32 v18, 0
	v_mov_b32_e32 v17, 0
	s_and_saveexec_b64 s[16:17], s[72:73]
	s_cbranch_execz .LBB2_1292
; %bb.1285:                             ;   in Loop: Header=BB2_900 Depth=2
	v_cmp_ne_u16_sdwa s[74:75], sext(v19), s38 src0_sel:BYTE_0 src1_sel:DWORD
	v_bfrev_b32_e32 v17, 1
	s_and_saveexec_b64 s[72:73], s[74:75]
	s_cbranch_execz .LBB2_1291
; %bb.1286:                             ;   in Loop: Header=BB2_900 Depth=2
	v_and_b32_e32 v2, 0x7c, v19
	v_and_b32_e32 v0, 3, v19
	v_cmp_ne_u32_e32 vcc, s39, v2
                                        ; implicit-def: $vgpr17
	s_and_saveexec_b64 s[74:75], vcc
	s_xor_b64 s[74:75], exec, s[74:75]
	s_cbranch_execz .LBB2_1288
; %bb.1287:                             ;   in Loop: Header=BB2_900 Depth=2
	v_ffbh_u32_e32 v17, v0
	v_min_u32_e32 v17, 32, v17
	v_bfe_u32 v2, v19, 2, 5
	v_subrev_u32_e32 v27, 29, v17
	v_lshlrev_b64 v[27:28], v27, v[19:20]
	v_sub_u32_e32 v17, 30, v17
	v_cmp_eq_u32_e32 vcc, 0, v2
	v_cndmask_b32_e32 v2, v2, v17, vcc
	v_lshlrev_b32_e32 v17, 24, v19
	v_and_b32_e32 v20, 3, v27
	v_and_b32_e32 v17, 0x80000000, v17
	v_cndmask_b32_e32 v0, v0, v20, vcc
	v_lshl_add_u32 v2, v2, 23, v17
	v_lshl_or_b32 v0, v0, 21, v2
	v_add_u32_e32 v17, 0x38000000, v0
                                        ; implicit-def: $vgpr0
.LBB2_1288:                             ;   in Loop: Header=BB2_900 Depth=2
	s_andn2_saveexec_b64 s[74:75], s[74:75]
; %bb.1289:                             ;   in Loop: Header=BB2_900 Depth=2
	v_cmp_gt_i16_sdwa vcc, sext(v19), v7 src0_sel:BYTE_0 src1_sel:DWORD
	v_cndmask_b32_e32 v2, v8, v54, vcc
	v_cmp_eq_u32_e32 vcc, 0, v0
	v_cndmask_b32_e32 v17, v55, v2, vcc
; %bb.1290:                             ;   in Loop: Header=BB2_900 Depth=2
	s_or_b64 exec, exec, s[74:75]
.LBB2_1291:                             ;   in Loop: Header=BB2_900 Depth=2
	s_or_b64 exec, exec, s[72:73]
.LBB2_1292:                             ;   in Loop: Header=BB2_900 Depth=2
	s_or_b64 exec, exec, s[16:17]
	v_lshlrev_b32_e32 v2, 24, v24
	v_lshlrev_b32_e32 v20, 16, v33
	v_lshl_or_b32 v0, v32, 8, v30
	v_or3_b32 v2, v20, v2, v0
	v_cmp_ne_u32_e32 vcc, 0, v30
	s_and_saveexec_b64 s[72:73], vcc
	s_cbranch_execz .LBB2_1300
; %bb.1293:                             ;   in Loop: Header=BB2_900 Depth=2
	v_cmp_ne_u32_e32 vcc, s48, v30
	v_bfrev_b32_e32 v18, 1
	s_and_saveexec_b64 s[74:75], vcc
	s_cbranch_execz .LBB2_1299
; %bb.1294:                             ;   in Loop: Header=BB2_900 Depth=2
	v_and_b32_e32 v18, 0x7c, v30
	v_and_b32_e32 v20, 3, v30
	v_cmp_ne_u32_e32 vcc, s39, v18
                                        ; implicit-def: $vgpr18
	s_and_saveexec_b64 s[16:17], vcc
	s_xor_b64 s[16:17], exec, s[16:17]
	s_cbranch_execz .LBB2_1296
; %bb.1295:                             ;   in Loop: Header=BB2_900 Depth=2
	v_ffbh_u32_e32 v24, v20
	v_min_u32_e32 v24, 32, v24
	v_bfe_u32 v18, v30, 2, 5
	v_subrev_u32_e32 v27, 29, v24
	v_lshlrev_b64 v[27:28], v27, v[2:3]
	v_sub_u32_e32 v24, 30, v24
	v_cmp_eq_u32_e32 vcc, 0, v18
	v_cndmask_b32_e32 v18, v18, v24, vcc
	v_lshlrev_b32_e32 v24, 24, v30
	v_and_b32_e32 v27, 3, v27
	v_and_b32_e32 v24, 0x80000000, v24
	v_cndmask_b32_e32 v20, v20, v27, vcc
	v_lshl_add_u32 v18, v18, 23, v24
	v_lshl_or_b32 v18, v20, 21, v18
	v_add_u32_e32 v18, 0x38000000, v18
                                        ; implicit-def: $vgpr20
                                        ; implicit-def: $vgpr30
.LBB2_1296:                             ;   in Loop: Header=BB2_900 Depth=2
	s_andn2_saveexec_b64 s[76:77], s[16:17]
; %bb.1297:                             ;   in Loop: Header=BB2_900 Depth=2
	v_and_b32_e32 v18, 0x80, v30
	v_cmp_eq_u32_e64 s[16:17], 0, v18
	v_cmp_eq_u32_e32 vcc, 0, v20
	v_cndmask_b32_e64 v18, v8, v54, s[16:17]
	v_cndmask_b32_e32 v18, v55, v18, vcc
; %bb.1298:                             ;   in Loop: Header=BB2_900 Depth=2
	s_or_b64 exec, exec, s[76:77]
.LBB2_1299:                             ;   in Loop: Header=BB2_900 Depth=2
	s_or_b64 exec, exec, s[74:75]
.LBB2_1300:                             ;   in Loop: Header=BB2_900 Depth=2
	s_or_b64 exec, exec, s[72:73]
	v_add_f32_e32 v27, v17, v18
	v_and_b32_e32 v32, 0x7f800000, v27
	v_mov_b32_e32 v33, v3
	v_cmp_ne_u64_e32 vcc, s[56:57], v[32:33]
	v_and_b32_e32 v17, 0x7fffff, v27
	v_mov_b32_e32 v18, v3
                                        ; implicit-def: $vgpr20
	s_and_saveexec_b64 s[16:17], vcc
	s_xor_b64 s[72:73], exec, s[16:17]
	s_cbranch_execz .LBB2_1314
; %bb.1301:                             ;   in Loop: Header=BB2_900 Depth=2
	v_and_b32_e32 v32, 0x7fffffff, v27
	v_mov_b32_e32 v33, v3
	v_cmp_gt_u64_e32 vcc, s[58:59], v[32:33]
	v_and_b32_sdwa v24, v27, s48 dst_sel:DWORD dst_unused:UNUSED_PAD src0_sel:BYTE_3 src1_sel:DWORD
                                        ; implicit-def: $vgpr20
	s_and_saveexec_b64 s[16:17], vcc
	s_xor_b64 s[74:75], exec, s[16:17]
	s_cbranch_execz .LBB2_1311
; %bb.1302:                             ;   in Loop: Header=BB2_900 Depth=2
	v_mov_b32_e32 v20, 0
	v_cmp_ne_u32_e32 vcc, 0, v27
	s_and_saveexec_b64 s[76:77], vcc
	s_cbranch_execz .LBB2_1310
; %bb.1303:                             ;   in Loop: Header=BB2_900 Depth=2
	v_bfe_u32 v20, v27, 23, 8
	v_cmp_gt_u32_e64 s[16:17], s49, v20
	v_sub_u32_e32 v27, 0x71, v20
	v_cmp_eq_u32_e32 vcc, 0, v20
	v_cndmask_b32_e64 v27, 0, v27, s[16:17]
	v_cndmask_b32_e32 v30, v27, v12, vcc
	v_or_b32_e32 v28, 0x800000, v17
	v_add_u32_e32 v27, 21, v30
	v_cndmask_b32_e32 v17, v28, v17, vcc
	v_lshlrev_b64 v[27:28], v27, -1
	v_add_u32_e32 v32, 20, v30
	v_bfi_b32 v27, v27, 0, v17
	v_lshlrev_b64 v[32:33], v32, 1
	v_lshrrev_b64 v[17:18], v30, v[17:18]
	v_bfi_b32 v28, v28, 0, 0
	v_cmp_eq_u64_e64 s[16:17], v[27:28], v[32:33]
	v_mov_b32_e32 v28, v18
	v_mov_b32_e32 v27, v17
	s_and_saveexec_b64 s[78:79], s[16:17]
; %bb.1304:                             ;   in Loop: Header=BB2_900 Depth=2
	v_bfe_u32 v18, v17, 21, 1
	v_add_co_u32_e64 v18, s[16:17], v17, v18
	v_add_co_u32_e64 v27, s[16:17], -1, v18
; %bb.1305:                             ;   in Loop: Header=BB2_900 Depth=2
	s_or_b64 exec, exec, s[78:79]
	v_add_u32_e32 v18, 0xffffff81, v20
	v_cndmask_b32_e32 v18, v18, v48, vcc
	v_lshrrev_b32_e32 v20, 23, v17
	v_add3_u32 v30, v30, v18, v20
	v_add_u32_e32 v28, 14, v30
	v_and_b32_e32 v18, 0x1fffff, v27
	v_add_u32_e32 v17, v18, v17
	v_mov_b32_e32 v18, v3
	v_cmp_ne_u32_e32 vcc, 0, v28
                                        ; implicit-def: $vgpr20
	s_and_saveexec_b64 s[16:17], vcc
	s_xor_b64 s[16:17], exec, s[16:17]
; %bb.1306:                             ;   in Loop: Header=BB2_900 Depth=2
	v_cmp_lt_u64_e32 vcc, s[60:61], v[17:18]
	v_add_u32_e32 v20, 15, v30
	v_cndmask_b32_e64 v27, 0, 1, vcc
	v_cndmask_b32_e32 v20, v28, v20, vcc
	v_lshrrev_b64 v[17:18], v27, v[17:18]
; %bb.1307:                             ;   in Loop: Header=BB2_900 Depth=2
	s_andn2_saveexec_b64 s[16:17], s[16:17]
; %bb.1308:                             ;   in Loop: Header=BB2_900 Depth=2
	v_bfe_u32 v20, v17, 23, 1
; %bb.1309:                             ;   in Loop: Header=BB2_900 Depth=2
	s_or_b64 exec, exec, s[16:17]
	v_lshrrev_b64 v[17:18], 21, v[17:18]
	v_cmp_gt_i32_e32 vcc, 32, v20
	v_cndmask_b32_e32 v18, 0, v18, vcc
	v_cndmask_b32_e32 v17, 3, v17, vcc
	v_cmp_eq_u64_e64 s[16:17], 0, v[17:18]
	v_min_i32_e32 v18, 31, v20
	v_lshlrev_b32_e32 v18, 2, v18
	v_cmp_eq_u32_e32 vcc, 0, v20
	v_and_b32_e32 v18, 0xfc, v18
	v_and_or_b32 v17, v17, 3, v18
	s_and_b64 s[16:17], vcc, s[16:17]
	v_cndmask_b32_e64 v17, v17, 0, s[16:17]
	v_or_b32_e32 v20, v17, v24
.LBB2_1310:                             ;   in Loop: Header=BB2_900 Depth=2
	s_or_b64 exec, exec, s[76:77]
                                        ; implicit-def: $vgpr24
.LBB2_1311:                             ;   in Loop: Header=BB2_900 Depth=2
	s_andn2_saveexec_b64 s[16:17], s[74:75]
; %bb.1312:                             ;   in Loop: Header=BB2_900 Depth=2
	v_or_b32_e32 v20, 0x7b, v24
; %bb.1313:                             ;   in Loop: Header=BB2_900 Depth=2
	s_or_b64 exec, exec, s[16:17]
                                        ; implicit-def: $vgpr27
                                        ; implicit-def: $vgpr17_vgpr18
.LBB2_1314:                             ;   in Loop: Header=BB2_900 Depth=2
	s_andn2_saveexec_b64 s[16:17], s[72:73]
	s_cbranch_execz .LBB2_1320
; %bb.1315:                             ;   in Loop: Header=BB2_900 Depth=2
	v_cmp_ne_u64_e32 vcc, 0, v[17:18]
                                        ; implicit-def: $vgpr20
	s_and_saveexec_b64 s[72:73], vcc
	s_xor_b64 s[72:73], exec, s[72:73]
; %bb.1316:                             ;   in Loop: Header=BB2_900 Depth=2
	v_or_b32_sdwa v20, v27, s50 dst_sel:DWORD dst_unused:UNUSED_PAD src0_sel:BYTE_3 src1_sel:DWORD
                                        ; implicit-def: $vgpr27
; %bb.1317:                             ;   in Loop: Header=BB2_900 Depth=2
	s_andn2_saveexec_b64 s[72:73], s[72:73]
; %bb.1318:                             ;   in Loop: Header=BB2_900 Depth=2
	v_cmp_lt_i32_e32 vcc, -1, v27
	v_cndmask_b32_e32 v20, v49, v11, vcc
; %bb.1319:                             ;   in Loop: Header=BB2_900 Depth=2
	s_or_b64 exec, exec, s[72:73]
.LBB2_1320:                             ;   in Loop: Header=BB2_900 Depth=2
	s_or_b64 exec, exec, s[16:17]
	v_lshrrev_b16_e32 v17, 8, v19
	v_cmp_ne_u16_e32 vcc, 0, v17
	v_mov_b32_e32 v24, 0
	v_mov_b32_e32 v27, 0
	s_and_saveexec_b64 s[16:17], vcc
	s_cbranch_execz .LBB2_1328
; %bb.1321:                             ;   in Loop: Header=BB2_900 Depth=2
	v_cmp_ne_u16_e32 vcc, s48, v17
	v_bfrev_b32_e32 v27, 1
	s_and_saveexec_b64 s[72:73], vcc
	s_cbranch_execz .LBB2_1327
; %bb.1322:                             ;   in Loop: Header=BB2_900 Depth=2
	v_and_b32_e32 v18, 0x7c, v17
	v_and_b32_e32 v28, 3, v17
	v_cmp_ne_u32_e32 vcc, s39, v18
                                        ; implicit-def: $vgpr27
	s_and_saveexec_b64 s[74:75], vcc
	s_xor_b64 s[74:75], exec, s[74:75]
	s_cbranch_execz .LBB2_1324
; %bb.1323:                             ;   in Loop: Header=BB2_900 Depth=2
	v_ffbh_u32_e32 v30, v28
	v_min_u32_e32 v30, 32, v30
	v_mov_b32_e32 v18, v3
	v_subrev_u32_e32 v32, 29, v30
	v_bfe_u32 v27, v17, 2, 5
	v_lshlrev_b64 v[17:18], v32, v[17:18]
	v_sub_u32_e32 v18, 30, v30
	v_cmp_eq_u32_e32 vcc, 0, v27
	v_cndmask_b32_e32 v18, v27, v18, vcc
	v_lshlrev_b32_e32 v27, 16, v19
	v_and_b32_e32 v17, 3, v17
	v_and_b32_e32 v27, 0x80000000, v27
	v_cndmask_b32_e32 v17, v28, v17, vcc
	v_lshl_add_u32 v18, v18, 23, v27
	v_lshl_or_b32 v17, v17, 21, v18
	v_add_u32_e32 v27, 0x38000000, v17
                                        ; implicit-def: $vgpr28
.LBB2_1324:                             ;   in Loop: Header=BB2_900 Depth=2
	s_andn2_saveexec_b64 s[74:75], s[74:75]
; %bb.1325:                             ;   in Loop: Header=BB2_900 Depth=2
	v_cmp_lt_i16_e32 vcc, -1, v19
	v_cndmask_b32_e32 v17, v8, v54, vcc
	v_cmp_eq_u32_e32 vcc, 0, v28
	v_cndmask_b32_e32 v27, v55, v17, vcc
; %bb.1326:                             ;   in Loop: Header=BB2_900 Depth=2
	s_or_b64 exec, exec, s[74:75]
.LBB2_1327:                             ;   in Loop: Header=BB2_900 Depth=2
	s_or_b64 exec, exec, s[72:73]
.LBB2_1328:                             ;   in Loop: Header=BB2_900 Depth=2
	s_or_b64 exec, exec, s[16:17]
	v_lshrrev_b16_e32 v17, 8, v0
	v_cmp_ne_u16_e32 vcc, 0, v17
	s_and_saveexec_b64 s[16:17], vcc
	s_cbranch_execz .LBB2_1336
; %bb.1329:                             ;   in Loop: Header=BB2_900 Depth=2
	v_cmp_ne_u16_e32 vcc, s48, v17
	v_bfrev_b32_e32 v24, 1
	s_and_saveexec_b64 s[72:73], vcc
	s_cbranch_execz .LBB2_1335
; %bb.1330:                             ;   in Loop: Header=BB2_900 Depth=2
	v_and_b32_e32 v18, 0x7c, v17
	v_and_b32_e32 v28, 3, v17
	v_cmp_ne_u32_e32 vcc, s39, v18
                                        ; implicit-def: $vgpr24
	s_and_saveexec_b64 s[74:75], vcc
	s_xor_b64 s[74:75], exec, s[74:75]
	s_cbranch_execz .LBB2_1332
; %bb.1331:                             ;   in Loop: Header=BB2_900 Depth=2
	v_ffbh_u32_e32 v30, v28
	v_min_u32_e32 v30, 32, v30
	v_mov_b32_e32 v18, v3
	v_subrev_u32_e32 v32, 29, v30
	v_bfe_u32 v24, v17, 2, 5
	v_lshlrev_b64 v[17:18], v32, v[17:18]
	v_sub_u32_e32 v18, 30, v30
	v_cmp_eq_u32_e32 vcc, 0, v24
	v_lshlrev_b32_e32 v0, 16, v0
	v_and_b32_e32 v17, 3, v17
	v_cndmask_b32_e32 v18, v24, v18, vcc
	v_and_b32_e32 v0, 0x80000000, v0
	v_cndmask_b32_e32 v17, v28, v17, vcc
	v_lshl_add_u32 v0, v18, 23, v0
	v_lshl_or_b32 v0, v17, 21, v0
	v_add_u32_e32 v24, 0x38000000, v0
                                        ; implicit-def: $vgpr28
                                        ; implicit-def: $vgpr0
.LBB2_1332:                             ;   in Loop: Header=BB2_900 Depth=2
	s_andn2_saveexec_b64 s[74:75], s[74:75]
; %bb.1333:                             ;   in Loop: Header=BB2_900 Depth=2
	v_cmp_lt_i16_e32 vcc, -1, v0
	v_cndmask_b32_e32 v0, v8, v54, vcc
	v_cmp_eq_u32_e32 vcc, 0, v28
	v_cndmask_b32_e32 v24, v55, v0, vcc
; %bb.1334:                             ;   in Loop: Header=BB2_900 Depth=2
	s_or_b64 exec, exec, s[74:75]
.LBB2_1335:                             ;   in Loop: Header=BB2_900 Depth=2
	s_or_b64 exec, exec, s[72:73]
.LBB2_1336:                             ;   in Loop: Header=BB2_900 Depth=2
	s_or_b64 exec, exec, s[16:17]
	v_add_f32_e32 v27, v27, v24
	v_and_b32_e32 v32, 0x7f800000, v27
	v_mov_b32_e32 v33, v3
	v_cmp_ne_u64_e32 vcc, s[56:57], v[32:33]
	v_and_b32_e32 v17, 0x7fffff, v27
	v_mov_b32_e32 v18, v3
                                        ; implicit-def: $vgpr24
	s_and_saveexec_b64 s[16:17], vcc
	s_xor_b64 s[72:73], exec, s[16:17]
	s_cbranch_execz .LBB2_1350
; %bb.1337:                             ;   in Loop: Header=BB2_900 Depth=2
	v_and_b32_e32 v32, 0x7fffffff, v27
	v_mov_b32_e32 v33, v3
	v_cmp_gt_u64_e32 vcc, s[58:59], v[32:33]
	v_and_b32_sdwa v0, v27, s48 dst_sel:DWORD dst_unused:UNUSED_PAD src0_sel:BYTE_3 src1_sel:DWORD
                                        ; implicit-def: $vgpr24
	s_and_saveexec_b64 s[16:17], vcc
	s_xor_b64 s[74:75], exec, s[16:17]
	s_cbranch_execz .LBB2_1347
; %bb.1338:                             ;   in Loop: Header=BB2_900 Depth=2
	v_mov_b32_e32 v24, 0
	v_cmp_ne_u32_e32 vcc, 0, v27
	s_and_saveexec_b64 s[76:77], vcc
	s_cbranch_execz .LBB2_1346
; %bb.1339:                             ;   in Loop: Header=BB2_900 Depth=2
	v_bfe_u32 v24, v27, 23, 8
	v_cmp_gt_u32_e64 s[16:17], s49, v24
	v_sub_u32_e32 v27, 0x71, v24
	v_cmp_eq_u32_e32 vcc, 0, v24
	v_cndmask_b32_e64 v27, 0, v27, s[16:17]
	v_cndmask_b32_e32 v30, v27, v12, vcc
	v_or_b32_e32 v28, 0x800000, v17
	v_add_u32_e32 v27, 21, v30
	v_cndmask_b32_e32 v17, v28, v17, vcc
	v_lshlrev_b64 v[27:28], v27, -1
	v_add_u32_e32 v32, 20, v30
	v_bfi_b32 v27, v27, 0, v17
	v_lshlrev_b64 v[32:33], v32, 1
	v_lshrrev_b64 v[17:18], v30, v[17:18]
	v_bfi_b32 v28, v28, 0, 0
	v_cmp_eq_u64_e64 s[16:17], v[27:28], v[32:33]
	v_mov_b32_e32 v28, v18
	v_mov_b32_e32 v27, v17
	s_and_saveexec_b64 s[78:79], s[16:17]
; %bb.1340:                             ;   in Loop: Header=BB2_900 Depth=2
	v_bfe_u32 v18, v17, 21, 1
	v_add_co_u32_e64 v18, s[16:17], v17, v18
	v_add_co_u32_e64 v27, s[16:17], -1, v18
; %bb.1341:                             ;   in Loop: Header=BB2_900 Depth=2
	s_or_b64 exec, exec, s[78:79]
	v_add_u32_e32 v18, 0xffffff81, v24
	v_cndmask_b32_e32 v18, v18, v48, vcc
	v_lshrrev_b32_e32 v24, 23, v17
	v_add3_u32 v30, v30, v18, v24
	v_add_u32_e32 v28, 14, v30
	v_and_b32_e32 v18, 0x1fffff, v27
	v_add_u32_e32 v17, v18, v17
	v_mov_b32_e32 v18, v3
	v_cmp_ne_u32_e32 vcc, 0, v28
                                        ; implicit-def: $vgpr24
	s_and_saveexec_b64 s[16:17], vcc
	s_xor_b64 s[16:17], exec, s[16:17]
; %bb.1342:                             ;   in Loop: Header=BB2_900 Depth=2
	v_cmp_lt_u64_e32 vcc, s[60:61], v[17:18]
	v_add_u32_e32 v24, 15, v30
	v_cndmask_b32_e64 v27, 0, 1, vcc
	v_cndmask_b32_e32 v24, v28, v24, vcc
	v_lshrrev_b64 v[17:18], v27, v[17:18]
; %bb.1343:                             ;   in Loop: Header=BB2_900 Depth=2
	s_andn2_saveexec_b64 s[16:17], s[16:17]
; %bb.1344:                             ;   in Loop: Header=BB2_900 Depth=2
	v_bfe_u32 v24, v17, 23, 1
; %bb.1345:                             ;   in Loop: Header=BB2_900 Depth=2
	s_or_b64 exec, exec, s[16:17]
	v_lshrrev_b64 v[17:18], 21, v[17:18]
	v_cmp_gt_i32_e32 vcc, 32, v24
	v_cndmask_b32_e32 v18, 0, v18, vcc
	v_cndmask_b32_e32 v17, 3, v17, vcc
	v_cmp_eq_u64_e64 s[16:17], 0, v[17:18]
	v_min_i32_e32 v18, 31, v24
	v_lshlrev_b32_e32 v18, 2, v18
	v_cmp_eq_u32_e32 vcc, 0, v24
	v_and_b32_e32 v18, 0xfc, v18
	v_and_or_b32 v17, v17, 3, v18
	s_and_b64 s[16:17], vcc, s[16:17]
	v_cndmask_b32_e64 v17, v17, 0, s[16:17]
	v_or_b32_e32 v24, v17, v0
.LBB2_1346:                             ;   in Loop: Header=BB2_900 Depth=2
	s_or_b64 exec, exec, s[76:77]
                                        ; implicit-def: $vgpr0
.LBB2_1347:                             ;   in Loop: Header=BB2_900 Depth=2
	s_andn2_saveexec_b64 s[16:17], s[74:75]
; %bb.1348:                             ;   in Loop: Header=BB2_900 Depth=2
	v_or_b32_e32 v24, 0x7b, v0
; %bb.1349:                             ;   in Loop: Header=BB2_900 Depth=2
	s_or_b64 exec, exec, s[16:17]
                                        ; implicit-def: $vgpr27
                                        ; implicit-def: $vgpr17_vgpr18
.LBB2_1350:                             ;   in Loop: Header=BB2_900 Depth=2
	s_andn2_saveexec_b64 s[16:17], s[72:73]
	s_cbranch_execz .LBB2_1356
; %bb.1351:                             ;   in Loop: Header=BB2_900 Depth=2
	v_cmp_ne_u64_e32 vcc, 0, v[17:18]
                                        ; implicit-def: $vgpr24
	s_and_saveexec_b64 s[72:73], vcc
	s_xor_b64 s[72:73], exec, s[72:73]
; %bb.1352:                             ;   in Loop: Header=BB2_900 Depth=2
	v_or_b32_sdwa v24, v27, s50 dst_sel:DWORD dst_unused:UNUSED_PAD src0_sel:BYTE_3 src1_sel:DWORD
                                        ; implicit-def: $vgpr27
; %bb.1353:                             ;   in Loop: Header=BB2_900 Depth=2
	s_andn2_saveexec_b64 s[72:73], s[72:73]
; %bb.1354:                             ;   in Loop: Header=BB2_900 Depth=2
	v_cmp_lt_i32_e32 vcc, -1, v27
	v_cndmask_b32_e32 v24, v49, v11, vcc
; %bb.1355:                             ;   in Loop: Header=BB2_900 Depth=2
	s_or_b64 exec, exec, s[72:73]
.LBB2_1356:                             ;   in Loop: Header=BB2_900 Depth=2
	s_or_b64 exec, exec, s[16:17]
	v_lshrrev_b32_e32 v0, 16, v19
	v_cmp_ne_u16_sdwa s[72:73], v0, v3 src0_sel:BYTE_0 src1_sel:DWORD
	v_mov_b32_e32 v17, 0
	v_mov_b32_e32 v18, 0
	s_and_saveexec_b64 s[16:17], s[72:73]
	s_cbranch_execz .LBB2_1364
; %bb.1357:                             ;   in Loop: Header=BB2_900 Depth=2
	v_cmp_ne_u16_sdwa s[74:75], v0, s48 src0_sel:BYTE_0 src1_sel:DWORD
	v_bfrev_b32_e32 v18, 1
	s_and_saveexec_b64 s[72:73], s[74:75]
	s_cbranch_execz .LBB2_1363
; %bb.1358:                             ;   in Loop: Header=BB2_900 Depth=2
	v_and_b32_e32 v18, 0x7c0000, v19
	v_bfe_u32 v27, v19, 16, 2
	v_cmp_ne_u32_e32 vcc, s51, v18
                                        ; implicit-def: $vgpr18
	s_and_saveexec_b64 s[74:75], vcc
	s_xor_b64 s[74:75], exec, s[74:75]
	s_cbranch_execz .LBB2_1360
; %bb.1359:                             ;   in Loop: Header=BB2_900 Depth=2
	v_ffbh_u32_e32 v28, v27
	v_min_u32_e32 v28, 32, v28
	v_subrev_u32_e32 v30, 29, v28
	v_lshlrev_b64 v[32:33], v30, v[0:1]
	v_bfe_u32 v18, v19, 18, 5
	v_sub_u32_e32 v0, 30, v28
	v_and_b32_e32 v28, 3, v32
	v_cmp_eq_u32_e32 vcc, 0, v18
	v_cndmask_b32_e32 v0, v18, v0, vcc
	v_cndmask_b32_e32 v18, v27, v28, vcc
	v_lshlrev_b32_e32 v27, 8, v19
	v_and_b32_e32 v27, 0x80000000, v27
	v_lshl_add_u32 v0, v0, 23, v27
	v_lshl_or_b32 v0, v18, 21, v0
	v_add_u32_e32 v18, 0x38000000, v0
                                        ; implicit-def: $vgpr27
                                        ; implicit-def: $vgpr0
.LBB2_1360:                             ;   in Loop: Header=BB2_900 Depth=2
	s_andn2_saveexec_b64 s[74:75], s[74:75]
; %bb.1361:                             ;   in Loop: Header=BB2_900 Depth=2
	v_cmp_gt_i16_sdwa vcc, sext(v0), v7 src0_sel:BYTE_0 src1_sel:DWORD
	v_cndmask_b32_e32 v0, v8, v54, vcc
	v_cmp_eq_u32_e32 vcc, 0, v27
	v_cndmask_b32_e32 v18, v55, v0, vcc
; %bb.1362:                             ;   in Loop: Header=BB2_900 Depth=2
	s_or_b64 exec, exec, s[74:75]
.LBB2_1363:                             ;   in Loop: Header=BB2_900 Depth=2
	s_or_b64 exec, exec, s[72:73]
.LBB2_1364:                             ;   in Loop: Header=BB2_900 Depth=2
	s_or_b64 exec, exec, s[16:17]
	v_and_b32_sdwa v27, v2, s37 dst_sel:DWORD dst_unused:UNUSED_PAD src0_sel:WORD_1 src1_sel:DWORD
	v_lshrrev_b32_e32 v0, 16, v2
	v_cmp_ne_u16_e32 vcc, 0, v27
	s_and_saveexec_b64 s[16:17], vcc
	s_cbranch_execz .LBB2_1372
; %bb.1365:                             ;   in Loop: Header=BB2_900 Depth=2
	v_cmp_ne_u16_e32 vcc, s48, v27
	v_bfrev_b32_e32 v17, 1
	s_and_saveexec_b64 s[72:73], vcc
	s_cbranch_execz .LBB2_1371
; %bb.1366:                             ;   in Loop: Header=BB2_900 Depth=2
	v_and_b32_e32 v17, 0x7c0000, v2
	v_bfe_u32 v27, v2, 16, 2
	v_cmp_ne_u32_e32 vcc, s51, v17
                                        ; implicit-def: $vgpr17
	s_and_saveexec_b64 s[74:75], vcc
	s_xor_b64 s[74:75], exec, s[74:75]
	s_cbranch_execz .LBB2_1368
; %bb.1367:                             ;   in Loop: Header=BB2_900 Depth=2
	v_ffbh_u32_e32 v28, v27
	v_min_u32_e32 v28, 32, v28
	v_subrev_u32_e32 v30, 29, v28
	v_lshlrev_b64 v[32:33], v30, v[0:1]
	v_bfe_u32 v17, v2, 18, 5
	v_sub_u32_e32 v0, 30, v28
	v_and_b32_e32 v28, 3, v32
	v_cmp_eq_u32_e32 vcc, 0, v17
	v_cndmask_b32_e32 v0, v17, v0, vcc
	v_cndmask_b32_e32 v17, v27, v28, vcc
	v_lshlrev_b32_e32 v27, 8, v2
	v_and_b32_e32 v27, 0x80000000, v27
	v_lshl_add_u32 v0, v0, 23, v27
	v_lshl_or_b32 v0, v17, 21, v0
	v_add_u32_e32 v17, 0x38000000, v0
                                        ; implicit-def: $vgpr27
                                        ; implicit-def: $vgpr0
.LBB2_1368:                             ;   in Loop: Header=BB2_900 Depth=2
	s_andn2_saveexec_b64 s[74:75], s[74:75]
; %bb.1369:                             ;   in Loop: Header=BB2_900 Depth=2
	v_cmp_gt_i16_sdwa vcc, sext(v0), v7 src0_sel:BYTE_0 src1_sel:DWORD
	v_cndmask_b32_e32 v0, v8, v54, vcc
	v_cmp_eq_u32_e32 vcc, 0, v27
	v_cndmask_b32_e32 v17, v55, v0, vcc
; %bb.1370:                             ;   in Loop: Header=BB2_900 Depth=2
	s_or_b64 exec, exec, s[74:75]
.LBB2_1371:                             ;   in Loop: Header=BB2_900 Depth=2
	s_or_b64 exec, exec, s[72:73]
.LBB2_1372:                             ;   in Loop: Header=BB2_900 Depth=2
	s_or_b64 exec, exec, s[16:17]
	v_add_f32_e32 v28, v18, v17
	v_and_b32_e32 v32, 0x7f800000, v28
	v_mov_b32_e32 v33, v3
	v_cmp_ne_u64_e32 vcc, s[56:57], v[32:33]
	v_and_b32_e32 v17, 0x7fffff, v28
	v_mov_b32_e32 v18, v3
                                        ; implicit-def: $vgpr27
	s_and_saveexec_b64 s[16:17], vcc
	s_xor_b64 s[72:73], exec, s[16:17]
	s_cbranch_execz .LBB2_1386
; %bb.1373:                             ;   in Loop: Header=BB2_900 Depth=2
	v_and_b32_e32 v32, 0x7fffffff, v28
	v_mov_b32_e32 v33, v3
	v_cmp_gt_u64_e32 vcc, s[58:59], v[32:33]
	v_and_b32_sdwa v0, v28, s48 dst_sel:DWORD dst_unused:UNUSED_PAD src0_sel:BYTE_3 src1_sel:DWORD
                                        ; implicit-def: $vgpr27
	s_and_saveexec_b64 s[16:17], vcc
	s_xor_b64 s[74:75], exec, s[16:17]
	s_cbranch_execz .LBB2_1383
; %bb.1374:                             ;   in Loop: Header=BB2_900 Depth=2
	v_mov_b32_e32 v27, 0
	v_cmp_ne_u32_e32 vcc, 0, v28
	s_and_saveexec_b64 s[76:77], vcc
	s_cbranch_execz .LBB2_1382
; %bb.1375:                             ;   in Loop: Header=BB2_900 Depth=2
	v_bfe_u32 v30, v28, 23, 8
	v_cmp_gt_u32_e64 s[16:17], s49, v30
	v_sub_u32_e32 v27, 0x71, v30
	v_cmp_eq_u32_e32 vcc, 0, v30
	v_cndmask_b32_e64 v27, 0, v27, s[16:17]
	v_cndmask_b32_e32 v32, v27, v12, vcc
	v_or_b32_e32 v28, 0x800000, v17
	v_add_u32_e32 v27, 21, v32
	v_cndmask_b32_e32 v17, v28, v17, vcc
	v_lshlrev_b64 v[27:28], v27, -1
	v_add_u32_e32 v33, 20, v32
	v_bfi_b32 v27, v27, 0, v17
	v_lshlrev_b64 v[36:37], v33, 1
	v_lshrrev_b64 v[17:18], v32, v[17:18]
	v_bfi_b32 v28, v28, 0, 0
	v_cmp_eq_u64_e64 s[16:17], v[27:28], v[36:37]
	v_mov_b32_e32 v28, v18
	v_mov_b32_e32 v27, v17
	s_and_saveexec_b64 s[78:79], s[16:17]
; %bb.1376:                             ;   in Loop: Header=BB2_900 Depth=2
	v_bfe_u32 v18, v17, 21, 1
	v_add_co_u32_e64 v18, s[16:17], v17, v18
	v_add_co_u32_e64 v27, s[16:17], -1, v18
; %bb.1377:                             ;   in Loop: Header=BB2_900 Depth=2
	s_or_b64 exec, exec, s[78:79]
	v_add_u32_e32 v18, 0xffffff81, v30
	v_cndmask_b32_e32 v18, v18, v48, vcc
	v_lshrrev_b32_e32 v28, 23, v17
	v_add3_u32 v30, v32, v18, v28
	v_add_u32_e32 v28, 14, v30
	v_and_b32_e32 v18, 0x1fffff, v27
	v_add_u32_e32 v17, v18, v17
	v_mov_b32_e32 v18, v3
	v_cmp_ne_u32_e32 vcc, 0, v28
                                        ; implicit-def: $vgpr27
	s_and_saveexec_b64 s[16:17], vcc
	s_xor_b64 s[16:17], exec, s[16:17]
; %bb.1378:                             ;   in Loop: Header=BB2_900 Depth=2
	v_cmp_lt_u64_e32 vcc, s[60:61], v[17:18]
	v_add_u32_e32 v27, 15, v30
	v_cndmask_b32_e32 v27, v28, v27, vcc
	v_cndmask_b32_e64 v28, 0, 1, vcc
	v_lshrrev_b64 v[17:18], v28, v[17:18]
; %bb.1379:                             ;   in Loop: Header=BB2_900 Depth=2
	s_andn2_saveexec_b64 s[16:17], s[16:17]
; %bb.1380:                             ;   in Loop: Header=BB2_900 Depth=2
	v_bfe_u32 v27, v17, 23, 1
; %bb.1381:                             ;   in Loop: Header=BB2_900 Depth=2
	s_or_b64 exec, exec, s[16:17]
	v_lshrrev_b64 v[17:18], 21, v[17:18]
	v_cmp_gt_i32_e32 vcc, 32, v27
	v_cndmask_b32_e32 v18, 0, v18, vcc
	v_cndmask_b32_e32 v17, 3, v17, vcc
	v_cmp_eq_u64_e64 s[16:17], 0, v[17:18]
	v_min_i32_e32 v18, 31, v27
	v_lshlrev_b32_e32 v18, 2, v18
	v_cmp_eq_u32_e32 vcc, 0, v27
	v_and_b32_e32 v18, 0xfc, v18
	v_and_or_b32 v17, v17, 3, v18
	s_and_b64 s[16:17], vcc, s[16:17]
	v_cndmask_b32_e64 v17, v17, 0, s[16:17]
	v_or_b32_e32 v27, v17, v0
.LBB2_1382:                             ;   in Loop: Header=BB2_900 Depth=2
	s_or_b64 exec, exec, s[76:77]
                                        ; implicit-def: $vgpr0
.LBB2_1383:                             ;   in Loop: Header=BB2_900 Depth=2
	s_andn2_saveexec_b64 s[16:17], s[74:75]
; %bb.1384:                             ;   in Loop: Header=BB2_900 Depth=2
	v_or_b32_e32 v27, 0x7b, v0
; %bb.1385:                             ;   in Loop: Header=BB2_900 Depth=2
	s_or_b64 exec, exec, s[16:17]
                                        ; implicit-def: $vgpr28
                                        ; implicit-def: $vgpr17_vgpr18
.LBB2_1386:                             ;   in Loop: Header=BB2_900 Depth=2
	s_andn2_saveexec_b64 s[16:17], s[72:73]
	s_cbranch_execz .LBB2_1392
; %bb.1387:                             ;   in Loop: Header=BB2_900 Depth=2
	v_cmp_ne_u64_e32 vcc, 0, v[17:18]
                                        ; implicit-def: $vgpr27
	s_and_saveexec_b64 s[72:73], vcc
	s_xor_b64 s[72:73], exec, s[72:73]
; %bb.1388:                             ;   in Loop: Header=BB2_900 Depth=2
	v_or_b32_sdwa v27, v28, s50 dst_sel:DWORD dst_unused:UNUSED_PAD src0_sel:BYTE_3 src1_sel:DWORD
                                        ; implicit-def: $vgpr28
; %bb.1389:                             ;   in Loop: Header=BB2_900 Depth=2
	s_andn2_saveexec_b64 s[72:73], s[72:73]
; %bb.1390:                             ;   in Loop: Header=BB2_900 Depth=2
	v_cmp_lt_i32_e32 vcc, -1, v28
	v_cndmask_b32_e32 v27, v49, v11, vcc
; %bb.1391:                             ;   in Loop: Header=BB2_900 Depth=2
	s_or_b64 exec, exec, s[72:73]
.LBB2_1392:                             ;   in Loop: Header=BB2_900 Depth=2
	s_or_b64 exec, exec, s[16:17]
	v_mov_b32_e32 v18, v3
	v_cmp_lt_u64_e32 vcc, s[46:47], v[18:19]
	v_mov_b32_e32 v17, 0
	v_mov_b32_e32 v28, 0
	s_and_saveexec_b64 s[16:17], vcc
	s_cbranch_execz .LBB2_1400
; %bb.1393:                             ;   in Loop: Header=BB2_900 Depth=2
	v_lshrrev_b32_e32 v0, 24, v19
	v_cmp_ne_u32_e32 vcc, s48, v0
	v_bfrev_b32_e32 v28, 1
	s_and_saveexec_b64 s[72:73], vcc
	s_cbranch_execz .LBB2_1399
; %bb.1394:                             ;   in Loop: Header=BB2_900 Depth=2
	v_and_b32_e32 v28, 0x7c000000, v19
	v_bfe_u32 v30, v19, 24, 2
	v_cmp_ne_u32_e32 vcc, s52, v28
                                        ; implicit-def: $vgpr28
	s_and_saveexec_b64 s[74:75], vcc
	s_xor_b64 s[74:75], exec, s[74:75]
	s_cbranch_execz .LBB2_1396
; %bb.1395:                             ;   in Loop: Header=BB2_900 Depth=2
	v_ffbh_u32_e32 v28, v30
	v_min_u32_e32 v28, 32, v28
	v_subrev_u32_e32 v32, 29, v28
	v_bfe_u32 v18, v19, 26, 5
	v_lshlrev_b64 v[32:33], v32, v[0:1]
	v_sub_u32_e32 v0, 30, v28
	v_cmp_eq_u32_e32 vcc, 0, v18
	v_and_b32_e32 v28, 3, v32
	v_cndmask_b32_e32 v0, v18, v0, vcc
	v_and_b32_e32 v19, 0x80000000, v19
	v_cndmask_b32_e32 v18, v30, v28, vcc
	v_lshl_add_u32 v0, v0, 23, v19
	v_lshl_or_b32 v0, v18, 21, v0
	v_add_u32_e32 v28, 0x38000000, v0
                                        ; implicit-def: $vgpr30
                                        ; implicit-def: $vgpr18_vgpr19
.LBB2_1396:                             ;   in Loop: Header=BB2_900 Depth=2
	s_andn2_saveexec_b64 s[74:75], s[74:75]
; %bb.1397:                             ;   in Loop: Header=BB2_900 Depth=2
	v_cmp_lt_i64_e32 vcc, -1, v[18:19]
	v_cndmask_b32_e32 v0, v8, v54, vcc
	v_cmp_eq_u32_e32 vcc, 0, v30
	v_cndmask_b32_e32 v28, v55, v0, vcc
; %bb.1398:                             ;   in Loop: Header=BB2_900 Depth=2
	s_or_b64 exec, exec, s[74:75]
.LBB2_1399:                             ;   in Loop: Header=BB2_900 Depth=2
	s_or_b64 exec, exec, s[72:73]
.LBB2_1400:                             ;   in Loop: Header=BB2_900 Depth=2
	s_or_b64 exec, exec, s[16:17]
	v_cmp_lt_u32_e32 vcc, s47, v2
	s_and_saveexec_b64 s[16:17], vcc
	s_cbranch_execz .LBB2_1408
; %bb.1401:                             ;   in Loop: Header=BB2_900 Depth=2
	v_lshrrev_b32_e32 v0, 24, v2
	v_cmp_ne_u32_e32 vcc, s48, v0
	v_bfrev_b32_e32 v17, 1
	s_and_saveexec_b64 s[72:73], vcc
	s_cbranch_execz .LBB2_1407
; %bb.1402:                             ;   in Loop: Header=BB2_900 Depth=2
	v_and_b32_e32 v17, 0x7c000000, v2
	v_bfe_u32 v18, v2, 24, 2
	v_cmp_ne_u32_e32 vcc, s52, v17
                                        ; implicit-def: $vgpr17
	s_and_saveexec_b64 s[74:75], vcc
	s_xor_b64 s[74:75], exec, s[74:75]
	s_cbranch_execz .LBB2_1404
; %bb.1403:                             ;   in Loop: Header=BB2_900 Depth=2
	v_ffbh_u32_e32 v19, v18
	v_min_u32_e32 v19, 32, v19
	v_subrev_u32_e32 v30, 29, v19
	v_bfe_u32 v17, v2, 26, 5
	v_lshlrev_b64 v[32:33], v30, v[0:1]
	v_sub_u32_e32 v0, 30, v19
	v_cmp_eq_u32_e32 vcc, 0, v17
	v_and_b32_e32 v19, 3, v32
	v_cndmask_b32_e32 v0, v17, v0, vcc
	v_and_b32_e32 v2, 0x80000000, v2
	v_cndmask_b32_e32 v17, v18, v19, vcc
	v_lshl_add_u32 v0, v0, 23, v2
	v_lshl_or_b32 v0, v17, 21, v0
	v_add_u32_e32 v17, 0x38000000, v0
                                        ; implicit-def: $vgpr18
.LBB2_1404:                             ;   in Loop: Header=BB2_900 Depth=2
	s_andn2_saveexec_b64 s[74:75], s[74:75]
; %bb.1405:                             ;   in Loop: Header=BB2_900 Depth=2
	v_cmp_lt_i32_e32 vcc, -1, v2
	v_cndmask_b32_e32 v0, v8, v54, vcc
	v_cmp_eq_u32_e32 vcc, 0, v18
	v_cndmask_b32_e32 v17, v55, v0, vcc
; %bb.1406:                             ;   in Loop: Header=BB2_900 Depth=2
	s_or_b64 exec, exec, s[74:75]
.LBB2_1407:                             ;   in Loop: Header=BB2_900 Depth=2
	s_or_b64 exec, exec, s[72:73]
.LBB2_1408:                             ;   in Loop: Header=BB2_900 Depth=2
	s_or_b64 exec, exec, s[16:17]
	v_add_f32_e32 v17, v28, v17
	v_and_b32_e32 v18, 0x7f800000, v17
	v_mov_b32_e32 v19, v3
	v_cmp_ne_u64_e32 vcc, s[56:57], v[18:19]
	v_and_b32_e32 v2, 0x7fffff, v17
                                        ; implicit-def: $vgpr18
	s_and_saveexec_b64 s[16:17], vcc
	s_xor_b64 s[72:73], exec, s[16:17]
	s_cbranch_execz .LBB2_1422
; %bb.1409:                             ;   in Loop: Header=BB2_900 Depth=2
	v_and_b32_e32 v18, 0x7fffffff, v17
	v_mov_b32_e32 v19, v3
	v_cmp_gt_u64_e32 vcc, s[58:59], v[18:19]
	v_and_b32_sdwa v0, v17, s48 dst_sel:DWORD dst_unused:UNUSED_PAD src0_sel:BYTE_3 src1_sel:DWORD
                                        ; implicit-def: $vgpr18
	s_and_saveexec_b64 s[16:17], vcc
	s_xor_b64 s[74:75], exec, s[16:17]
	s_cbranch_execz .LBB2_1419
; %bb.1410:                             ;   in Loop: Header=BB2_900 Depth=2
	v_mov_b32_e32 v18, 0
	v_cmp_ne_u32_e32 vcc, 0, v17
	s_and_saveexec_b64 s[76:77], vcc
	s_cbranch_execz .LBB2_1418
; %bb.1411:                             ;   in Loop: Header=BB2_900 Depth=2
	v_bfe_u32 v28, v17, 23, 8
	v_cmp_gt_u32_e64 s[16:17], s49, v28
	v_sub_u32_e32 v17, 0x71, v28
	v_cmp_eq_u32_e32 vcc, 0, v28
	v_cndmask_b32_e64 v17, 0, v17, s[16:17]
	v_cndmask_b32_e32 v30, v17, v12, vcc
	v_or_b32_e32 v18, 0x800000, v2
	v_add_u32_e32 v17, 21, v30
	v_cndmask_b32_e32 v2, v18, v2, vcc
	v_lshlrev_b64 v[17:18], v17, -1
	v_add_u32_e32 v19, 20, v30
	v_lshlrev_b64 v[32:33], v19, 1
	v_bfi_b32 v18, v18, 0, 0
	v_bfi_b32 v17, v17, 0, v2
	v_cmp_eq_u64_e64 s[16:17], v[17:18], v[32:33]
	v_lshrrev_b64 v[17:18], v30, v[2:3]
	v_mov_b32_e32 v19, v18
	v_mov_b32_e32 v18, v17
	s_and_saveexec_b64 s[78:79], s[16:17]
; %bb.1412:                             ;   in Loop: Header=BB2_900 Depth=2
	v_bfe_u32 v2, v17, 21, 1
	v_add_co_u32_e64 v2, s[16:17], v17, v2
	v_add_co_u32_e64 v18, s[16:17], -1, v2
; %bb.1413:                             ;   in Loop: Header=BB2_900 Depth=2
	s_or_b64 exec, exec, s[78:79]
	v_add_u32_e32 v2, 0xffffff81, v28
	v_cndmask_b32_e32 v2, v2, v48, vcc
	v_lshrrev_b32_e32 v19, 23, v17
	v_add3_u32 v30, v30, v2, v19
	v_add_u32_e32 v28, 14, v30
	v_and_b32_e32 v2, 0x1fffff, v18
	v_add_u32_e32 v2, v2, v17
	v_cmp_ne_u32_e32 vcc, 0, v28
                                        ; implicit-def: $vgpr17_vgpr18
                                        ; implicit-def: $vgpr19
	s_and_saveexec_b64 s[16:17], vcc
	s_xor_b64 s[16:17], exec, s[16:17]
; %bb.1414:                             ;   in Loop: Header=BB2_900 Depth=2
	v_cmp_lt_u64_e32 vcc, s[60:61], v[2:3]
	v_add_u32_e32 v17, 15, v30
	v_cndmask_b32_e32 v19, v28, v17, vcc
	v_cndmask_b32_e64 v17, 0, 1, vcc
	v_lshrrev_b64 v[17:18], v17, v[2:3]
; %bb.1415:                             ;   in Loop: Header=BB2_900 Depth=2
	s_andn2_saveexec_b64 s[16:17], s[16:17]
; %bb.1416:                             ;   in Loop: Header=BB2_900 Depth=2
	v_mov_b32_e32 v18, v3
	v_bfe_u32 v19, v2, 23, 1
	v_mov_b32_e32 v17, v2
; %bb.1417:                             ;   in Loop: Header=BB2_900 Depth=2
	s_or_b64 exec, exec, s[16:17]
	v_lshrrev_b64 v[17:18], 21, v[17:18]
	v_cmp_gt_i32_e32 vcc, 32, v19
	v_cndmask_b32_e32 v18, 0, v18, vcc
	v_cndmask_b32_e32 v17, 3, v17, vcc
	v_min_i32_e32 v2, 31, v19
	v_cmp_eq_u64_e64 s[16:17], 0, v[17:18]
	v_lshlrev_b32_e32 v2, 2, v2
	v_cmp_eq_u32_e32 vcc, 0, v19
	v_and_b32_e32 v2, 0xfc, v2
	v_and_or_b32 v2, v17, 3, v2
	s_and_b64 s[16:17], vcc, s[16:17]
	v_cndmask_b32_e64 v2, v2, 0, s[16:17]
	v_or_b32_e32 v18, v2, v0
.LBB2_1418:                             ;   in Loop: Header=BB2_900 Depth=2
	s_or_b64 exec, exec, s[76:77]
                                        ; implicit-def: $vgpr0
.LBB2_1419:                             ;   in Loop: Header=BB2_900 Depth=2
	s_andn2_saveexec_b64 s[16:17], s[74:75]
; %bb.1420:                             ;   in Loop: Header=BB2_900 Depth=2
	v_or_b32_e32 v18, 0x7b, v0
; %bb.1421:                             ;   in Loop: Header=BB2_900 Depth=2
	s_or_b64 exec, exec, s[16:17]
                                        ; implicit-def: $vgpr17
.LBB2_1422:                             ;   in Loop: Header=BB2_900 Depth=2
	s_andn2_saveexec_b64 s[16:17], s[72:73]
	s_cbranch_execz .LBB2_1428
; %bb.1423:                             ;   in Loop: Header=BB2_900 Depth=2
	v_cmp_ne_u64_e32 vcc, 0, v[2:3]
                                        ; implicit-def: $vgpr18
	s_and_saveexec_b64 s[72:73], vcc
	s_xor_b64 s[72:73], exec, s[72:73]
; %bb.1424:                             ;   in Loop: Header=BB2_900 Depth=2
	v_or_b32_sdwa v18, v17, s50 dst_sel:DWORD dst_unused:UNUSED_PAD src0_sel:BYTE_3 src1_sel:DWORD
                                        ; implicit-def: $vgpr17
; %bb.1425:                             ;   in Loop: Header=BB2_900 Depth=2
	s_andn2_saveexec_b64 s[72:73], s[72:73]
; %bb.1426:                             ;   in Loop: Header=BB2_900 Depth=2
	v_cmp_lt_i32_e32 vcc, -1, v17
	v_cndmask_b32_e32 v18, v49, v11, vcc
; %bb.1427:                             ;   in Loop: Header=BB2_900 Depth=2
	s_or_b64 exec, exec, s[72:73]
.LBB2_1428:                             ;   in Loop: Header=BB2_900 Depth=2
	s_or_b64 exec, exec, s[16:17]
	v_lshlrev_b32_e32 v0, 16, v29
	v_lshlrev_b32_e32 v2, 24, v23
	v_lshl_or_b32 v0, v31, 8, v0
	v_or3_b32 v17, v0, v2, v10
	v_lshlrev_b32_e32 v2, 16, v27
	v_lshlrev_b32_e32 v0, 24, v18
	v_lshl_or_b32 v2, v24, 8, v2
	v_cmp_lt_u32_e32 vcc, 7, v4
	v_or3_b32 v18, v2, v0, v20
	s_cmp_lg_u64 vcc, exec
	s_mov_b64 s[16:17], -1
	s_cbranch_scc0 .LBB2_1438
; %bb.1429:                             ;   in Loop: Header=BB2_900 Depth=2
	v_cmp_ne_u32_e64 s[16:17], 1, v4
	flat_store_byte v[46:47], v10
	s_and_saveexec_b64 s[72:73], s[16:17]
	s_cbranch_execnz .LBB2_1440
; %bb.1430:                             ;   in Loop: Header=BB2_900 Depth=2
	s_or_b64 exec, exec, s[72:73]
	v_cmp_lt_u32_e64 s[16:17], 2, v4
	s_and_saveexec_b64 s[72:73], s[16:17]
	s_cbranch_execnz .LBB2_1441
.LBB2_1431:                             ;   in Loop: Header=BB2_900 Depth=2
	s_or_b64 exec, exec, s[72:73]
	v_cmp_lt_u32_e64 s[16:17], 3, v4
	s_and_saveexec_b64 s[72:73], s[16:17]
	s_cbranch_execnz .LBB2_1442
.LBB2_1432:                             ;   in Loop: Header=BB2_900 Depth=2
	s_or_b64 exec, exec, s[72:73]
	v_cmp_lt_u32_e64 s[16:17], 4, v4
	s_and_saveexec_b64 s[72:73], s[16:17]
	s_cbranch_execnz .LBB2_1443
.LBB2_1433:                             ;   in Loop: Header=BB2_900 Depth=2
	s_or_b64 exec, exec, s[72:73]
	v_cmp_lt_u32_e64 s[16:17], 5, v4
	s_and_saveexec_b64 s[72:73], s[16:17]
	s_cbranch_execnz .LBB2_1444
.LBB2_1434:                             ;   in Loop: Header=BB2_900 Depth=2
	s_or_b64 exec, exec, s[72:73]
	v_cmp_lt_u32_e64 s[16:17], 6, v4
	s_and_saveexec_b64 s[72:73], s[16:17]
	s_cbranch_execnz .LBB2_1445
.LBB2_1435:                             ;   in Loop: Header=BB2_900 Depth=2
	s_or_b64 exec, exec, s[72:73]
	s_and_saveexec_b64 s[16:17], vcc
	s_cbranch_execz .LBB2_1437
.LBB2_1436:                             ;   in Loop: Header=BB2_900 Depth=2
	v_lshrrev_b32_e32 v0, 24, v18
	flat_store_byte v[46:47], v0 offset:7
.LBB2_1437:                             ;   in Loop: Header=BB2_900 Depth=2
	s_or_b64 exec, exec, s[16:17]
	s_mov_b64 s[16:17], 0
.LBB2_1438:                             ;   in Loop: Header=BB2_900 Depth=2
	s_and_b64 vcc, exec, s[16:17]
	s_cbranch_vccz .LBB2_899
; %bb.1439:                             ;   in Loop: Header=BB2_900 Depth=2
	global_store_dwordx2 v[46:47], v[17:18], off
	s_branch .LBB2_899
.LBB2_1440:                             ;   in Loop: Header=BB2_900 Depth=2
	v_lshrrev_b32_e32 v0, 8, v17
	flat_store_byte v[46:47], v0 offset:1
	s_or_b64 exec, exec, s[72:73]
	v_cmp_lt_u32_e64 s[16:17], 2, v4
	s_and_saveexec_b64 s[72:73], s[16:17]
	s_cbranch_execz .LBB2_1431
.LBB2_1441:                             ;   in Loop: Header=BB2_900 Depth=2
	flat_store_byte_d16_hi v[46:47], v17 offset:2
	s_or_b64 exec, exec, s[72:73]
	v_cmp_lt_u32_e64 s[16:17], 3, v4
	s_and_saveexec_b64 s[72:73], s[16:17]
	s_cbranch_execz .LBB2_1432
.LBB2_1442:                             ;   in Loop: Header=BB2_900 Depth=2
	v_lshrrev_b32_e32 v0, 24, v17
	flat_store_byte v[46:47], v0 offset:3
	s_or_b64 exec, exec, s[72:73]
	v_cmp_lt_u32_e64 s[16:17], 4, v4
	s_and_saveexec_b64 s[72:73], s[16:17]
	s_cbranch_execz .LBB2_1433
.LBB2_1443:                             ;   in Loop: Header=BB2_900 Depth=2
	flat_store_byte v[46:47], v20 offset:4
	s_or_b64 exec, exec, s[72:73]
	v_cmp_lt_u32_e64 s[16:17], 5, v4
	s_and_saveexec_b64 s[72:73], s[16:17]
	s_cbranch_execz .LBB2_1434
.LBB2_1444:                             ;   in Loop: Header=BB2_900 Depth=2
	v_lshrrev_b32_e32 v0, 8, v18
	flat_store_byte v[46:47], v0 offset:5
	s_or_b64 exec, exec, s[72:73]
	v_cmp_lt_u32_e64 s[16:17], 6, v4
	s_and_saveexec_b64 s[72:73], s[16:17]
	s_cbranch_execz .LBB2_1435
.LBB2_1445:                             ;   in Loop: Header=BB2_900 Depth=2
	flat_store_byte_d16_hi v[46:47], v18 offset:6
	s_or_b64 exec, exec, s[72:73]
	s_and_saveexec_b64 s[16:17], vcc
	s_cbranch_execnz .LBB2_1436
	s_branch .LBB2_1437
.LBB2_1446:                             ;   in Loop: Header=BB2_32 Depth=1
	s_or_b64 exec, exec, s[62:63]
	buffer_load_dword v43, off, s[0:3], s32 offset:68 ; 4-byte Folded Reload
	buffer_load_dword v44, off, s[0:3], s32 offset:72 ; 4-byte Folded Reload
.LBB2_1447:                             ;   in Loop: Header=BB2_32 Depth=1
	s_or_b64 exec, exec, s[18:19]
	buffer_load_dword v17, off, s[0:3], s32 offset:164 ; 4-byte Folded Reload
	buffer_load_dword v18, off, s[0:3], s32 offset:168 ; 4-byte Folded Reload
	;; [unrolled: 1-line block ×8, first 2 shown]
	s_waitcnt vmcnt(0)
	v_mov_b32_e32 v27, v20
	v_mov_b32_e32 v26, v19
	s_and_saveexec_b64 s[16:17], s[10:11]
	s_cbranch_execz .LBB2_1466
; %bb.1448:                             ;   in Loop: Header=BB2_32 Depth=1
	s_and_saveexec_b64 s[18:19], s[40:41]
	s_xor_b64 s[18:19], exec, s[18:19]
	s_cbranch_execz .LBB2_1463
; %bb.1449:                             ;   in Loop: Header=BB2_32 Depth=1
	s_and_saveexec_b64 s[62:63], s[12:13]
	s_cbranch_execz .LBB2_1462
; %bb.1450:                             ;   in Loop: Header=BB2_32 Depth=1
	s_mov_b64 s[74:75], exec
	s_waitcnt lgkmcnt(0)
	v_mbcnt_lo_u32_b32 v0, s74, 0
	v_mbcnt_hi_u32_b32 v0, s75, v0
	v_cmp_eq_u32_e32 vcc, 0, v0
	buffer_wbinvl1_vol
	s_and_saveexec_b64 s[72:73], vcc
	s_cbranch_execz .LBB2_1452
; %bb.1451:                             ;   in Loop: Header=BB2_32 Depth=1
	s_bcnt1_i32_b64 s26, s[74:75]
	v_mov_b32_e32 v2, s26
	ds_add_u64 v0, v[2:3]
	s_trap 2
.LBB2_1452:                             ;   in Loop: Header=BB2_32 Depth=1
	s_or_b64 exec, exec, s[72:73]
	s_trap 2
	ds_read_b64 v[17:18], v0
	s_waitcnt lgkmcnt(0)
	buffer_load_dword v0, off, s[0:3], s32 offset:132 ; 4-byte Folded Reload
	s_waitcnt vmcnt(0)
	v_add_co_u32_e32 v40, vcc, v40, v0
	v_addc_co_u32_e32 v41, vcc, 0, v41, vcc
	v_cmp_lt_u64_e32 vcc, v[17:18], v[40:41]
	s_and_saveexec_b64 s[72:73], vcc
	s_cbranch_execz .LBB2_1461
; %bb.1453:                             ;   in Loop: Header=BB2_32 Depth=1
	s_mov_b32 s26, 0
	s_mov_b64 s[74:75], 0
                                        ; implicit-def: $sgpr76_sgpr77
                                        ; implicit-def: $sgpr78_sgpr79
	s_branch .LBB2_1455
.LBB2_1454:                             ;   in Loop: Header=BB2_1455 Depth=2
	s_or_b64 exec, exec, s[90:91]
	s_and_b64 s[88:89], exec, s[92:93]
	s_or_b64 s[74:75], s[88:89], s[74:75]
	s_andn2_b64 s[76:77], s[76:77], exec
	s_and_b64 s[88:89], s[78:79], exec
	s_or_b64 s[76:77], s[76:77], s[88:89]
	s_andn2_b64 exec, exec, s[74:75]
	s_cbranch_execz .LBB2_1459
.LBB2_1455:                             ;   Parent Loop BB2_32 Depth=1
                                        ; =>  This Inner Loop Header: Depth=2
	s_add_i32 s26, s26, 1
	s_cmpk_lg_i32 s26, 0x2710
	s_cselect_b64 s[88:89], -1, 0
	s_and_b64 vcc, exec, s[88:89]
	s_cbranch_vccz .LBB2_1457
; %bb.1456:                             ;   in Loop: Header=BB2_1455 Depth=2
	s_mov_b64 s[92:93], -1
	s_or_b64 s[78:79], s[78:79], exec
	s_and_saveexec_b64 s[90:91], s[88:89]
	s_cbranch_execz .LBB2_1454
	s_branch .LBB2_1458
.LBB2_1457:                             ;   in Loop: Header=BB2_1455 Depth=2
	s_trap 2
	ds_read_b64 v[17:18], v0
	s_andn2_b64 s[88:89], s[88:89], exec
	s_mov_b32 s26, 0
	s_waitcnt lgkmcnt(0)
	flat_load_dword v0, v[17:18] glc
	s_waitcnt vmcnt(0) lgkmcnt(0)
	buffer_wbinvl1_vol
	v_cmp_eq_u32_e32 vcc, 0, v0
	s_and_b64 s[90:91], vcc, exec
	s_or_b64 s[88:89], s[88:89], s[90:91]
	s_mov_b64 s[92:93], -1
	s_or_b64 s[78:79], s[78:79], exec
	s_and_saveexec_b64 s[90:91], s[88:89]
	s_cbranch_execz .LBB2_1454
.LBB2_1458:                             ;   in Loop: Header=BB2_1455 Depth=2
	s_sleep 1
	s_trap 2
	ds_read_b64 v[17:18], v0
	s_waitcnt lgkmcnt(0)
	s_andn2_b64 s[78:79], s[78:79], exec
	v_cmp_ge_u64_e32 vcc, v[17:18], v[40:41]
	s_orn2_b64 s[92:93], vcc, exec
	s_branch .LBB2_1454
.LBB2_1459:                             ;   in Loop: Header=BB2_32 Depth=1
	s_or_b64 exec, exec, s[74:75]
	s_and_saveexec_b64 s[74:75], s[76:77]
	s_xor_b64 s[74:75], exec, s[74:75]
	s_cbranch_execz .LBB2_1461
; %bb.1460:                             ;   in Loop: Header=BB2_32 Depth=1
	v_mov_b32_e32 v0, 1
	ds_write_b32 v0, v0
	s_trap 2
.LBB2_1461:                             ;   in Loop: Header=BB2_32 Depth=1
	s_or_b64 exec, exec, s[72:73]
	;;#ASMSTART
	s_wakeup
	;;#ASMEND
.LBB2_1462:                             ;   in Loop: Header=BB2_32 Depth=1
	s_or_b64 exec, exec, s[62:63]
.LBB2_1463:                             ;   in Loop: Header=BB2_32 Depth=1
	s_andn2_saveexec_b64 s[18:19], s[18:19]
	s_cbranch_execz .LBB2_1465
; %bb.1464:                             ;   in Loop: Header=BB2_32 Depth=1
	s_waitcnt lgkmcnt(0)
	buffer_wbinvl1_vol
	s_barrier
.LBB2_1465:                             ;   in Loop: Header=BB2_32 Depth=1
	s_or_b64 exec, exec, s[18:19]
.LBB2_1466:                             ;   in Loop: Header=BB2_32 Depth=1
	s_or_b64 exec, exec, s[16:17]
	s_and_saveexec_b64 s[16:17], s[14:15]
	s_cbranch_execz .LBB2_31
; %bb.1467:                             ;   in Loop: Header=BB2_32 Depth=1
	buffer_load_dword v17, off, s[0:3], s32 offset:96 ; 4-byte Folded Reload
	buffer_load_dword v18, off, s[0:3], s32 offset:100 ; 4-byte Folded Reload
	v_add_co_u32_e32 v43, vcc, 1, v43
	v_addc_co_u32_e32 v44, vcc, 0, v44, vcc
	s_waitcnt vmcnt(0)
	flat_store_dwordx2 v[17:18], v[43:44]
	s_branch .LBB2_31
.LBB2_1468:
	s_or_b64 exec, exec, s[28:29]
	buffer_load_dword v31, off, s[0:3], s32 offset:244 ; 4-byte Folded Reload
	buffer_load_dword v11, off, s[0:3], s32 offset:248 ; 4-byte Folded Reload
	buffer_load_dword v8, off, s[0:3], s32 offset:252 ; 4-byte Folded Reload
	buffer_load_dword v9, off, s[0:3], s32 offset:256 ; 4-byte Folded Reload
	buffer_load_dword v28, off, s[0:3], s32 offset:260 ; 4-byte Folded Reload
	buffer_load_dword v29, off, s[0:3], s32 offset:264 ; 4-byte Folded Reload
	s_or_b64 exec, exec, s[24:25]
	s_and_saveexec_b64 s[6:7], s[22:23]
	s_cbranch_execz .LBB2_28
.LBB2_1469:
	s_waitcnt vmcnt(0) lgkmcnt(0)
	flat_store_dwordx2 v[28:29], v[43:44] offset:104
	s_or_b64 exec, exec, s[6:7]
	s_and_saveexec_b64 s[6:7], s[4:5]
	s_cbranch_execz .LBB2_29
.LBB2_1470:
	s_waitcnt vmcnt(0) lgkmcnt(0)
	flat_store_dwordx2 v[8:9], v[15:16] offset:104
	s_or_b64 exec, exec, s[6:7]
	v_cmp_ne_u32_e32 vcc, 64, v1
	s_and_saveexec_b64 s[4:5], vcc
	s_cbranch_execz .LBB2_1488
.LBB2_1471:
	s_waitcnt vmcnt(0)
	v_cmp_ne_u32_sdwa s[6:7], v1, v11 src0_sel:DWORD src1_sel:WORD_0
	s_and_saveexec_b64 s[8:9], s[6:7]
	s_xor_b64 s[6:7], exec, s[8:9]
	s_cbranch_execz .LBB2_1486
; %bb.1472:
	s_waitcnt lgkmcnt(0)
	v_and_b32_e32 v0, 63, v31
	v_cmp_eq_u32_e32 vcc, 0, v0
	s_and_saveexec_b64 s[8:9], vcc
	s_cbranch_execz .LBB2_1485
; %bb.1473:
	s_mov_b64 s[12:13], exec
	v_mbcnt_lo_u32_b32 v0, s12, 0
	v_mbcnt_hi_u32_b32 v0, s13, v0
	v_cmp_eq_u32_e32 vcc, 0, v0
	buffer_wbinvl1_vol
	s_and_saveexec_b64 s[10:11], vcc
	s_cbranch_execz .LBB2_1475
; %bb.1474:
	s_bcnt1_i32_b64 s12, s[12:13]
	v_mov_b32_e32 v2, s12
	v_mov_b32_e32 v3, 0
	ds_add_u64 v0, v[2:3]
	s_trap 2
.LBB2_1475:
	s_or_b64 exec, exec, s[10:11]
	v_lshrrev_b32_e32 v0, 6, v1
	s_trap 2
	ds_read_b64 v[2:3], v0
	s_waitcnt lgkmcnt(0)
	v_add_co_u32_e32 v0, vcc, v40, v0
	v_addc_co_u32_e32 v1, vcc, 0, v41, vcc
	v_cmp_lt_u64_e32 vcc, v[2:3], v[0:1]
	s_and_saveexec_b64 s[10:11], vcc
	s_cbranch_execz .LBB2_1484
; %bb.1476:
	s_mov_b32 s24, 0
	s_mov_b64 s[12:13], 0
                                        ; implicit-def: $sgpr14_sgpr15
                                        ; implicit-def: $sgpr16_sgpr17
	s_branch .LBB2_1478
.LBB2_1477:                             ;   in Loop: Header=BB2_1478 Depth=1
	s_or_b64 exec, exec, s[20:21]
	s_and_b64 s[18:19], exec, s[22:23]
	s_or_b64 s[12:13], s[18:19], s[12:13]
	s_andn2_b64 s[14:15], s[14:15], exec
	s_and_b64 s[18:19], s[16:17], exec
	s_or_b64 s[14:15], s[14:15], s[18:19]
	s_andn2_b64 exec, exec, s[12:13]
	s_cbranch_execz .LBB2_1482
.LBB2_1478:                             ; =>This Inner Loop Header: Depth=1
	s_add_i32 s24, s24, 1
	s_cmpk_lg_i32 s24, 0x2710
	s_cselect_b64 s[18:19], -1, 0
	s_and_b64 vcc, exec, s[18:19]
	s_cbranch_vccz .LBB2_1480
; %bb.1479:                             ;   in Loop: Header=BB2_1478 Depth=1
	s_mov_b64 s[22:23], -1
	s_or_b64 s[16:17], s[16:17], exec
	s_and_saveexec_b64 s[20:21], s[18:19]
	s_cbranch_execz .LBB2_1477
	s_branch .LBB2_1481
.LBB2_1480:                             ;   in Loop: Header=BB2_1478 Depth=1
	s_trap 2
	ds_read_b64 v[2:3], v0
	s_andn2_b64 s[18:19], s[18:19], exec
	s_mov_b32 s24, 0
	s_waitcnt lgkmcnt(0)
	flat_load_dword v2, v[2:3] glc
	s_waitcnt vmcnt(0) lgkmcnt(0)
	buffer_wbinvl1_vol
	v_cmp_eq_u32_e32 vcc, 0, v2
	s_and_b64 s[20:21], vcc, exec
	s_or_b64 s[18:19], s[18:19], s[20:21]
	s_mov_b64 s[22:23], -1
	s_or_b64 s[16:17], s[16:17], exec
	s_and_saveexec_b64 s[20:21], s[18:19]
	s_cbranch_execz .LBB2_1477
.LBB2_1481:                             ;   in Loop: Header=BB2_1478 Depth=1
	s_sleep 1
	s_trap 2
	ds_read_b64 v[2:3], v0
	s_waitcnt lgkmcnt(0)
	s_andn2_b64 s[16:17], s[16:17], exec
	v_cmp_ge_u64_e32 vcc, v[2:3], v[0:1]
	s_orn2_b64 s[22:23], vcc, exec
	s_branch .LBB2_1477
.LBB2_1482:
	s_or_b64 exec, exec, s[12:13]
	s_and_saveexec_b64 s[12:13], s[14:15]
	s_xor_b64 s[12:13], exec, s[12:13]
	s_cbranch_execz .LBB2_1484
; %bb.1483:
	v_mov_b32_e32 v0, 1
	ds_write_b32 v0, v0
	s_trap 2
.LBB2_1484:
	s_or_b64 exec, exec, s[10:11]
	;;#ASMSTART
	s_wakeup
	;;#ASMEND
.LBB2_1485:
	s_or_b64 exec, exec, s[8:9]
.LBB2_1486:
	s_andn2_saveexec_b64 s[6:7], s[6:7]
	s_cbranch_execz .LBB2_1488
; %bb.1487:
	s_waitcnt lgkmcnt(0)
	buffer_wbinvl1_vol
	s_barrier
.LBB2_1488:
	s_or_b64 exec, exec, s[4:5]
	buffer_load_dword v62, off, s[0:3], s32 ; 4-byte Folded Reload
	buffer_load_dword v61, off, s[0:3], s32 offset:4 ; 4-byte Folded Reload
	buffer_load_dword v60, off, s[0:3], s32 offset:8 ; 4-byte Folded Reload
	;; [unrolled: 1-line block ×9, first 2 shown]
	s_waitcnt lgkmcnt(0)
	buffer_load_dword v44, off, s[0:3], s32 offset:40 ; 4-byte Folded Reload
	buffer_load_dword v43, off, s[0:3], s32 offset:44 ; 4-byte Folded Reload
	buffer_load_dword v42, off, s[0:3], s32 offset:48 ; 4-byte Folded Reload
	buffer_load_dword v41, off, s[0:3], s32 offset:52 ; 4-byte Folded Reload
	buffer_load_dword v40, off, s[0:3], s32 offset:56 ; 4-byte Folded Reload
	v_readlane_b32 s30, v63, 12
	v_readlane_b32 s31, v63, 13
	;; [unrolled: 1-line block ×14, first 2 shown]
	s_or_saveexec_b64 s[4:5], -1
	buffer_load_dword v63, off, s[0:3], s32 offset:268 ; 4-byte Folded Reload
	s_mov_b64 exec, s[4:5]
	s_waitcnt vmcnt(0)
	s_setpc_b64 s[30:31]
.Lfunc_end2:
	.size	_ZN12_GLOBAL__N_17runRingI14__hip_fp8_e5m213FuncPreMulSumIS1_E7ProtoLLLi0ELi2ELi0EEEviiP15ncclDevWorkColl, .Lfunc_end2-_ZN12_GLOBAL__N_17runRingI14__hip_fp8_e5m213FuncPreMulSumIS1_E7ProtoLLLi0ELi2ELi0EEEviiP15ncclDevWorkColl
                                        ; -- End function
	.set .L_ZN12_GLOBAL__N_17runRingI14__hip_fp8_e5m213FuncPreMulSumIS1_E7ProtoLLLi0ELi2ELi0EEEviiP15ncclDevWorkColl.num_vgpr, 64
	.set .L_ZN12_GLOBAL__N_17runRingI14__hip_fp8_e5m213FuncPreMulSumIS1_E7ProtoLLLi0ELi2ELi0EEEviiP15ncclDevWorkColl.num_agpr, 0
	.set .L_ZN12_GLOBAL__N_17runRingI14__hip_fp8_e5m213FuncPreMulSumIS1_E7ProtoLLLi0ELi2ELi0EEEviiP15ncclDevWorkColl.numbered_sgpr, 96
	.set .L_ZN12_GLOBAL__N_17runRingI14__hip_fp8_e5m213FuncPreMulSumIS1_E7ProtoLLLi0ELi2ELi0EEEviiP15ncclDevWorkColl.num_named_barrier, 0
	.set .L_ZN12_GLOBAL__N_17runRingI14__hip_fp8_e5m213FuncPreMulSumIS1_E7ProtoLLLi0ELi2ELi0EEEviiP15ncclDevWorkColl.private_seg_size, 276
	.set .L_ZN12_GLOBAL__N_17runRingI14__hip_fp8_e5m213FuncPreMulSumIS1_E7ProtoLLLi0ELi2ELi0EEEviiP15ncclDevWorkColl.uses_vcc, 1
	.set .L_ZN12_GLOBAL__N_17runRingI14__hip_fp8_e5m213FuncPreMulSumIS1_E7ProtoLLLi0ELi2ELi0EEEviiP15ncclDevWorkColl.uses_flat_scratch, 0
	.set .L_ZN12_GLOBAL__N_17runRingI14__hip_fp8_e5m213FuncPreMulSumIS1_E7ProtoLLLi0ELi2ELi0EEEviiP15ncclDevWorkColl.has_dyn_sized_stack, 0
	.set .L_ZN12_GLOBAL__N_17runRingI14__hip_fp8_e5m213FuncPreMulSumIS1_E7ProtoLLLi0ELi2ELi0EEEviiP15ncclDevWorkColl.has_recursion, 0
	.set .L_ZN12_GLOBAL__N_17runRingI14__hip_fp8_e5m213FuncPreMulSumIS1_E7ProtoLLLi0ELi2ELi0EEEviiP15ncclDevWorkColl.has_indirect_call, 0
	.section	.AMDGPU.csdata,"",@progbits
; Function info:
; codeLenInByte = 39164
; TotalNumSgprs: 100
; NumVgprs: 64
; ScratchSize: 276
; MemoryBound: 0
	.text
	.p2align	2                               ; -- Begin function _Z56ncclDevFunc_ReduceScatter_RING_LL_PreMulSum_f8e5m2_0_0_2v
	.type	_Z56ncclDevFunc_ReduceScatter_RING_LL_PreMulSum_f8e5m2_0_0_2v,@function
_Z56ncclDevFunc_ReduceScatter_RING_LL_PreMulSum_f8e5m2_0_0_2v: ; @_Z56ncclDevFunc_ReduceScatter_RING_LL_PreMulSum_f8e5m2_0_0_2v
; %bb.0:
	s_waitcnt vmcnt(0) expcnt(0) lgkmcnt(0)
	s_mov_b32 s4, s33
	s_mov_b32 s33, s32
	s_or_saveexec_b64 s[6:7], -1
	buffer_store_dword v43, off, s[0:3], s33 offset:16 ; 4-byte Folded Spill
	s_mov_b64 exec, s[6:7]
	v_writelane_b32 v43, s4, 20
	s_addk_i32 s32, 0x800
	buffer_store_dword v40, off, s[0:3], s33 offset:12 ; 4-byte Folded Spill
	buffer_store_dword v41, off, s[0:3], s33 offset:8 ; 4-byte Folded Spill
	;; [unrolled: 1-line block ×3, first 2 shown]
	buffer_store_dword v63, off, s[0:3], s33 ; 4-byte Folded Spill
	v_writelane_b32 v43, s34, 0
	v_writelane_b32 v43, s35, 1
	v_writelane_b32 v43, s36, 2
	v_writelane_b32 v43, s37, 3
	v_writelane_b32 v43, s38, 4
	v_writelane_b32 v43, s39, 5
	v_writelane_b32 v43, s48, 6
	v_writelane_b32 v43, s49, 7
	v_writelane_b32 v43, s50, 8
	v_writelane_b32 v43, s51, 9
	v_writelane_b32 v43, s52, 10
	v_writelane_b32 v43, s53, 11
	v_writelane_b32 v43, s54, 12
	v_writelane_b32 v43, s55, 13
	v_writelane_b32 v43, s64, 14
	v_writelane_b32 v43, s65, 15
	v_writelane_b32 v43, s66, 16
	v_writelane_b32 v43, s67, 17
	v_writelane_b32 v43, s30, 18
	v_writelane_b32 v43, s31, 19
	s_trap 2
	ds_read_b32 v0, v0
	v_mov_b32_e32 v40, v31
	v_and_b32_e32 v41, 0x3ff, v40
	s_mov_b32 s64, s12
	s_mov_b64 s[54:55], s[8:9]
	s_waitcnt lgkmcnt(0)
	v_cmp_lt_i32_e32 vcc, v41, v0
	s_and_saveexec_b64 s[4:5], vcc
	s_cbranch_execz .LBB3_5
; %bb.1:
	s_load_dword s6, s[54:55], 0x0
	v_mov_b32_e32 v1, 0
	s_mov_b32 s10, 0
	v_mov_b32_e32 v4, v41
                                        ; implicit-def: $vgpr3
	s_waitcnt lgkmcnt(0)
	s_cmp_lt_u32 s64, s6
	s_cselect_b32 s6, 12, 18
	s_add_u32 s6, s54, s6
	s_addc_u32 s7, s55, 0
	global_load_ushort v1, v1, s[6:7]
	s_trap 2
	ds_read_b32 v2, v0
	s_mov_b64 s[6:7], 0
	s_waitcnt vmcnt(0) lgkmcnt(0)
	v_mul_lo_u32 v2, v2, v1
	s_branch .LBB3_3
.LBB3_2:                                ;   in Loop: Header=BB3_3 Depth=1
	s_or_b64 exec, exec, s[8:9]
	v_add_u32_e32 v4, v4, v1
	v_cmp_ge_i32_e32 vcc, v4, v0
	s_or_b64 s[6:7], vcc, s[6:7]
	v_add_u32_e32 v3, v3, v2
	s_andn2_b64 exec, exec, s[6:7]
	s_cbranch_execz .LBB3_5
.LBB3_3:                                ; =>This Inner Loop Header: Depth=1
	ds_read_b32 v5, v3
	s_waitcnt lgkmcnt(0)
	v_and_b32_e32 v5, 0x1000000, v5
	v_cmp_ne_u32_e32 vcc, 0, v5
	s_and_saveexec_b64 s[8:9], vcc
	s_cbranch_execz .LBB3_2
; %bb.4:                                ;   in Loop: Header=BB3_3 Depth=1
	ds_read_b64 v[5:6], v3 offset:104
	s_waitcnt lgkmcnt(0)
	flat_load_ubyte v5, v[5:6]
	v_mov_b32_e32 v6, s10
	s_waitcnt vmcnt(0) lgkmcnt(0)
	v_and_b32_e32 v5, 0xffff, v5
	ds_write_b64 v3, v[5:6] offset:104
	s_branch .LBB3_2
.LBB3_5:
	s_or_b64 exec, exec, s[4:5]
	s_waitcnt vmcnt(0) lgkmcnt(0)
	s_barrier
	s_trap 2
	ds_read_b32 v0, v0
	s_waitcnt lgkmcnt(0)
	v_cmp_gt_i32_e32 vcc, 1, v0
	s_cbranch_vccnz .LBB3_13
; %bb.6:
	s_mov_b32 s65, 0
	v_mov_b32_e32 v42, 6
	s_branch .LBB3_8
.LBB3_7:                                ;   in Loop: Header=BB3_8 Depth=1
	s_or_b64 exec, exec, s[66:67]
	s_trap 2
	ds_read_b32 v0, v0
	s_add_i32 s65, s65, 1
	s_waitcnt lgkmcnt(0)
	v_cmp_lt_i32_e32 vcc, s65, v0
	s_cbranch_vccz .LBB3_13
.LBB3_8:                                ; =>This Inner Loop Header: Depth=1
	s_trap 2
	ds_read_b32 v0, v0
	s_cmp_eq_u32 s65, 0
	s_cbranch_scc1 .LBB3_11
; %bb.9:                                ;   in Loop: Header=BB3_8 Depth=1
	s_trap 2
	s_waitcnt lgkmcnt(0)
	ds_read_b32 v1, v0
	s_waitcnt lgkmcnt(0)
	v_xor_b32_e32 v1, v1, v0
	v_and_b32_e32 v1, 0xff0000, v1
	v_cmp_eq_u32_e32 vcc, 0, v1
	s_cbranch_vccnz .LBB3_11
; %bb.10:                               ;   in Loop: Header=BB3_8 Depth=1
	s_barrier
	ds_read_b32 v0, v0
.LBB3_11:                               ;   in Loop: Header=BB3_8 Depth=1
	s_waitcnt lgkmcnt(0)
	v_lshlrev_b32_sdwa v1, v42, v0 dst_sel:DWORD dst_unused:UNUSED_PAD src0_sel:DWORD src1_sel:BYTE_2
	v_cmp_lt_u32_e32 vcc, v41, v1
	s_and_saveexec_b64 s[66:67], vcc
	s_cbranch_execz .LBB3_7
; %bb.12:                               ;   in Loop: Header=BB3_8 Depth=1
	s_mov_b64 s[4:5], src_shared_base
	s_getpc_b64 s[6:7]
	s_add_u32 s6, s6, _ZN12_GLOBAL__N_17runRingI14__hip_fp8_e5m213FuncPreMulSumIS1_E7ProtoLLLi0ELi2ELi0EEEviiP15ncclDevWorkColl@rel32@lo+4
	s_addc_u32 s7, s7, _ZN12_GLOBAL__N_17runRingI14__hip_fp8_e5m213FuncPreMulSumIS1_E7ProtoLLLi0ELi2ELi0EEEviiP15ncclDevWorkColl@rel32@hi+12
	s_mov_b64 s[8:9], s[54:55]
	s_mov_b32 s12, s64
	v_mov_b32_e32 v31, v40
	v_mov_b32_e32 v0, v41
	;; [unrolled: 1-line block ×3, first 2 shown]
	s_swappc_b64 s[30:31], s[6:7]
	s_branch .LBB3_7
.LBB3_13:
	buffer_load_dword v63, off, s[0:3], s33 ; 4-byte Folded Reload
	buffer_load_dword v42, off, s[0:3], s33 offset:4 ; 4-byte Folded Reload
	buffer_load_dword v41, off, s[0:3], s33 offset:8 ; 4-byte Folded Reload
	;; [unrolled: 1-line block ×3, first 2 shown]
	v_readlane_b32 s30, v43, 18
	v_readlane_b32 s31, v43, 19
	;; [unrolled: 1-line block ×20, first 2 shown]
	s_mov_b32 s32, s33
	v_readlane_b32 s4, v43, 20
	s_or_saveexec_b64 s[6:7], -1
	buffer_load_dword v43, off, s[0:3], s33 offset:16 ; 4-byte Folded Reload
	s_mov_b64 exec, s[6:7]
	s_mov_b32 s33, s4
	s_waitcnt vmcnt(0)
	s_setpc_b64 s[30:31]
.Lfunc_end3:
	.size	_Z56ncclDevFunc_ReduceScatter_RING_LL_PreMulSum_f8e5m2_0_0_2v, .Lfunc_end3-_Z56ncclDevFunc_ReduceScatter_RING_LL_PreMulSum_f8e5m2_0_0_2v
                                        ; -- End function
	.set .L_Z56ncclDevFunc_ReduceScatter_RING_LL_PreMulSum_f8e5m2_0_0_2v.num_vgpr, max(64, .L_ZN12_GLOBAL__N_17runRingI14__hip_fp8_e5m213FuncPreMulSumIS1_E7ProtoLLLi0ELi2ELi0EEEviiP15ncclDevWorkColl.num_vgpr)
	.set .L_Z56ncclDevFunc_ReduceScatter_RING_LL_PreMulSum_f8e5m2_0_0_2v.num_agpr, max(0, .L_ZN12_GLOBAL__N_17runRingI14__hip_fp8_e5m213FuncPreMulSumIS1_E7ProtoLLLi0ELi2ELi0EEEviiP15ncclDevWorkColl.num_agpr)
	.set .L_Z56ncclDevFunc_ReduceScatter_RING_LL_PreMulSum_f8e5m2_0_0_2v.numbered_sgpr, max(68, .L_ZN12_GLOBAL__N_17runRingI14__hip_fp8_e5m213FuncPreMulSumIS1_E7ProtoLLLi0ELi2ELi0EEEviiP15ncclDevWorkColl.numbered_sgpr)
	.set .L_Z56ncclDevFunc_ReduceScatter_RING_LL_PreMulSum_f8e5m2_0_0_2v.num_named_barrier, max(0, .L_ZN12_GLOBAL__N_17runRingI14__hip_fp8_e5m213FuncPreMulSumIS1_E7ProtoLLLi0ELi2ELi0EEEviiP15ncclDevWorkColl.num_named_barrier)
	.set .L_Z56ncclDevFunc_ReduceScatter_RING_LL_PreMulSum_f8e5m2_0_0_2v.private_seg_size, 32+max(.L_ZN12_GLOBAL__N_17runRingI14__hip_fp8_e5m213FuncPreMulSumIS1_E7ProtoLLLi0ELi2ELi0EEEviiP15ncclDevWorkColl.private_seg_size)
	.set .L_Z56ncclDevFunc_ReduceScatter_RING_LL_PreMulSum_f8e5m2_0_0_2v.uses_vcc, or(1, .L_ZN12_GLOBAL__N_17runRingI14__hip_fp8_e5m213FuncPreMulSumIS1_E7ProtoLLLi0ELi2ELi0EEEviiP15ncclDevWorkColl.uses_vcc)
	.set .L_Z56ncclDevFunc_ReduceScatter_RING_LL_PreMulSum_f8e5m2_0_0_2v.uses_flat_scratch, or(0, .L_ZN12_GLOBAL__N_17runRingI14__hip_fp8_e5m213FuncPreMulSumIS1_E7ProtoLLLi0ELi2ELi0EEEviiP15ncclDevWorkColl.uses_flat_scratch)
	.set .L_Z56ncclDevFunc_ReduceScatter_RING_LL_PreMulSum_f8e5m2_0_0_2v.has_dyn_sized_stack, or(0, .L_ZN12_GLOBAL__N_17runRingI14__hip_fp8_e5m213FuncPreMulSumIS1_E7ProtoLLLi0ELi2ELi0EEEviiP15ncclDevWorkColl.has_dyn_sized_stack)
	.set .L_Z56ncclDevFunc_ReduceScatter_RING_LL_PreMulSum_f8e5m2_0_0_2v.has_recursion, or(1, .L_ZN12_GLOBAL__N_17runRingI14__hip_fp8_e5m213FuncPreMulSumIS1_E7ProtoLLLi0ELi2ELi0EEEviiP15ncclDevWorkColl.has_recursion)
	.set .L_Z56ncclDevFunc_ReduceScatter_RING_LL_PreMulSum_f8e5m2_0_0_2v.has_indirect_call, or(0, .L_ZN12_GLOBAL__N_17runRingI14__hip_fp8_e5m213FuncPreMulSumIS1_E7ProtoLLLi0ELi2ELi0EEEviiP15ncclDevWorkColl.has_indirect_call)
	.section	.AMDGPU.csdata,"",@progbits
; Function info:
; codeLenInByte = 928
; TotalNumSgprs: 100
; NumVgprs: 64
; ScratchSize: 308
; MemoryBound: 0
	.text
	.p2align	2                               ; -- Begin function _ZN12_GLOBAL__N_17runRingI14__hip_fp8_e5m213FuncPreMulSumIS1_E7ProtoLLLi0ELi4ELi0EEEviiP15ncclDevWorkColl
	.type	_ZN12_GLOBAL__N_17runRingI14__hip_fp8_e5m213FuncPreMulSumIS1_E7ProtoLLLi0ELi4ELi0EEEviiP15ncclDevWorkColl,@function
_ZN12_GLOBAL__N_17runRingI14__hip_fp8_e5m213FuncPreMulSumIS1_E7ProtoLLLi0ELi4ELi0EEEviiP15ncclDevWorkColl: ; @_ZN12_GLOBAL__N_17runRingI14__hip_fp8_e5m213FuncPreMulSumIS1_E7ProtoLLLi0ELi4ELi0EEEviiP15ncclDevWorkColl
; %bb.0:
	s_waitcnt vmcnt(0) expcnt(0) lgkmcnt(0)
	s_or_saveexec_b64 s[4:5], -1
	buffer_store_dword v63, off, s[0:3], s32 offset:268 ; 4-byte Folded Spill
	s_mov_b64 exec, s[4:5]
	buffer_store_dword v40, off, s[0:3], s32 offset:56 ; 4-byte Folded Spill
	buffer_store_dword v41, off, s[0:3], s32 offset:52 ; 4-byte Folded Spill
	;; [unrolled: 1-line block ×14, first 2 shown]
	buffer_store_dword v62, off, s[0:3], s32 ; 4-byte Folded Spill
	v_writelane_b32 v63, s34, 0
	v_writelane_b32 v63, s35, 1
	;; [unrolled: 1-line block ×14, first 2 shown]
	s_trap 2
	flat_load_dword v6, v[2:3]
	flat_load_dwordx4 v[24:27], v[2:3] offset:72
	flat_load_dwordx2 v[17:18], v[2:3] offset:88
	v_mov_b32_e32 v10, v0
	ds_read_b32 v4, v0
	s_waitcnt lgkmcnt(0)
	v_readfirstlane_b32 s20, v4
	s_waitcnt vmcnt(0)
	v_not_b32_sdwa v5, v6 dst_sel:DWORD dst_unused:UNUSED_PAD src0_sel:BYTE_0
	v_add_u32_sdwa v0, v6, v5 dst_sel:DWORD dst_unused:UNUSED_PAD src0_sel:BYTE_1 src1_sel:DWORD
	v_ashrrev_i32_e32 v7, 31, v0
	v_mul_lo_u32 v8, v27, v0
	v_mad_u64_u32 v[19:20], s[4:5], v26, v0, 0
	v_mul_lo_u32 v0, v26, v7
	v_cmp_ne_u32_sdwa s[4:5], v4, v6 src0_sel:DWORD src1_sel:BYTE_0
	ds_read_b64 v[60:61], v0
	v_add3_u32 v0, v20, v0, v8
                                        ; implicit-def: $vgpr20_vgpr21
                                        ; implicit-def: $vgpr7_vgpr8
                                        ; kill: killed $vgpr7_vgpr8
	s_and_saveexec_b64 s[6:7], s[4:5]
	s_xor_b64 s[4:5], exec, s[6:7]
	s_cbranch_execz .LBB4_6
; %bb.1:
	v_cmp_ne_u32_sdwa s[6:7], v4, v6 src0_sel:DWORD src1_sel:BYTE_1
                                        ; implicit-def: $vgpr20_vgpr21
                                        ; implicit-def: $vgpr6_vgpr7
                                        ; kill: killed $vgpr6_vgpr7
	s_and_saveexec_b64 s[10:11], s[6:7]
	s_xor_b64 s[6:7], exec, s[10:11]
	s_cbranch_execz .LBB4_3
; %bb.2:
	flat_load_dwordx2 v[6:7], v[2:3] offset:96
	v_add_u32_e32 v4, v4, v5
	v_ashrrev_i32_e32 v5, 31, v4
	v_mul_lo_u32 v5, v26, v5
	v_mul_lo_u32 v8, v27, v4
	v_mad_u64_u32 v[11:12], s[10:11], v26, v4, v[24:25]
	v_add3_u32 v12, v8, v12, v5
	buffer_store_dword v11, off, s[0:3], s32 offset:156 ; 4-byte Folded Spill
	s_nop 0
	buffer_store_dword v12, off, s[0:3], s32 offset:160 ; 4-byte Folded Spill
	s_waitcnt vmcnt(0) lgkmcnt(0)
	v_lshrrev_b64 v[20:21], 17, v[6:7]
.LBB4_3:
	s_andn2_saveexec_b64 s[6:7], s[6:7]
	s_cbranch_execz .LBB4_5
; %bb.4:
	flat_load_dword v4, v[2:3] offset:100
	v_add_co_u32_e32 v5, vcc, v19, v24
	v_mov_b32_e32 v27, v18
	v_addc_co_u32_e32 v6, vcc, v0, v25, vcc
	v_mov_b32_e32 v26, v17
	buffer_store_dword v5, off, s[0:3], s32 offset:156 ; 4-byte Folded Spill
	s_nop 0
	buffer_store_dword v6, off, s[0:3], s32 offset:160 ; 4-byte Folded Spill
	s_waitcnt vmcnt(0) lgkmcnt(0)
	v_lshrrev_b32_e32 v20, 6, v4
.LBB4_5:
	s_or_b64 exec, exec, s[6:7]
.LBB4_6:
	s_andn2_saveexec_b64 s[4:5], s[4:5]
	s_cbranch_execz .LBB4_8
; %bb.7:
	flat_load_dwordx2 v[4:5], v[2:3] offset:96
	v_mov_b32_e32 v27, v25
	v_mov_b32_e32 v26, v24
	s_waitcnt vmcnt(0) lgkmcnt(0)
	v_lshlrev_b64 v[20:21], 4, v[4:5]
	v_mov_b32_e32 v4, 0
	v_mov_b32_e32 v5, 0
	buffer_store_dword v4, off, s[0:3], s32 offset:156 ; 4-byte Folded Spill
	s_nop 0
	buffer_store_dword v5, off, s[0:3], s32 offset:160 ; 4-byte Folded Spill
.LBB4_8:
	s_or_b64 exec, exec, s[4:5]
	flat_load_dwordx4 v[4:7], v[2:3] offset:16
	s_mov_b32 s13, 0
	v_mov_b32_e32 v62, 0
	s_waitcnt vmcnt(0) lgkmcnt(0)
	buffer_store_dword v4, off, s[0:3], s32 offset:204 ; 4-byte Folded Spill
	s_nop 0
	buffer_store_dword v5, off, s[0:3], s32 offset:208 ; 4-byte Folded Spill
	buffer_store_dword v6, off, s[0:3], s32 offset:212 ; 4-byte Folded Spill
	;; [unrolled: 1-line block ×3, first 2 shown]
	flat_load_dwordx2 v[15:16], v[2:3] offset:104
	flat_load_ushort v14, v[2:3] offset:8
	flat_load_dword v13, v[2:3] offset:4
	v_mov_b32_e32 v2, 0
	s_waitcnt vmcnt(0) lgkmcnt(0)
	v_cmp_ne_u16_sdwa s[6:7], v15, v2 src0_sel:BYTE_0 src1_sel:DWORD
	s_and_saveexec_b64 s[4:5], s[6:7]
	s_cbranch_execz .LBB4_16
; %bb.9:
	v_bfe_i32 v3, v15, 0, 8
	s_movk_i32 s6, 0xff80
	v_cmp_ne_u16_e32 vcc, s6, v3
	v_bfrev_b32_e32 v62, 1
	s_and_saveexec_b64 s[6:7], vcc
	s_cbranch_execz .LBB4_15
; %bb.10:
	s_movk_i32 s10, 0x7c
	v_and_b32_e32 v5, 0x7c, v15
	v_and_b32_e32 v4, 3, v15
	v_cmp_ne_u32_e32 vcc, s10, v5
                                        ; implicit-def: $vgpr62
	s_and_saveexec_b64 s[10:11], vcc
	s_xor_b64 s[10:11], exec, s[10:11]
	s_cbranch_execz .LBB4_12
; %bb.11:
	v_ffbh_u32_e32 v5, v4
	v_min_u32_e32 v8, 32, v5
	v_subrev_u32_e32 v5, 29, v8
	v_bfe_u32 v7, v15, 2, 5
	v_lshlrev_b64 v[5:6], v5, v[15:16]
	v_sub_u32_e32 v6, 30, v8
	v_cmp_eq_u32_e32 vcc, 0, v7
	s_brev_b32 s14, 1
	v_and_b32_e32 v5, 3, v5
	v_cndmask_b32_e32 v6, v7, v6, vcc
	v_and_b32_sdwa v3, sext(v3), s14 dst_sel:DWORD dst_unused:UNUSED_PAD src0_sel:WORD_0 src1_sel:DWORD
	v_cndmask_b32_e32 v4, v4, v5, vcc
	v_lshl_add_u32 v3, v6, 23, v3
	v_lshl_or_b32 v3, v4, 21, v3
	v_add_u32_e32 v62, 0x38000000, v3
                                        ; implicit-def: $vgpr4
                                        ; implicit-def: $vgpr3
.LBB4_12:
	s_andn2_saveexec_b64 s[10:11], s[10:11]
; %bb.13:
	v_mov_b32_e32 v5, 0xff800000
	v_mov_b32_e32 v6, 0x7f800000
	v_cmp_lt_i16_e32 vcc, -1, v3
	v_cndmask_b32_e32 v3, v5, v6, vcc
	v_mov_b32_e32 v5, 0x7f800001
	v_cmp_eq_u32_e32 vcc, 0, v4
	v_cndmask_b32_e32 v62, v5, v3, vcc
; %bb.14:
	s_or_b64 exec, exec, s[10:11]
.LBB4_15:
	s_or_b64 exec, exec, s[6:7]
.LBB4_16:
	s_or_b64 exec, exec, s[4:5]
	s_load_dword s4, s[8:9], 0x0
	v_lshrrev_b64 v[3:4], 31, v[13:14]
	v_and_b32_e32 v4, 63, v10
	v_mov_b32_e32 v8, 0
	v_and_b32_e32 v5, 3, v3
	s_waitcnt lgkmcnt(0)
	s_cmp_lt_u32 s12, s4
	s_cselect_b32 s4, 12, 18
	s_add_u32 s4, s8, s4
	s_addc_u32 s5, s9, 0
	global_load_ushort v11, v2, s[4:5]
	s_trap 2
	ds_read_b32 v2, v0
	v_mov_b32_e32 v9, 0
	v_cmp_eq_u32_e64 s[4:5], 0, v4
	s_waitcnt lgkmcnt(0)
	v_cmp_gt_i32_e32 vcc, 0, v2
	v_readfirstlane_b32 s8, v2
	s_cbranch_vccnz .LBB4_18
; %bb.17:
	s_trap 2
	ds_read_b64 v[6:7], v0
	v_mov_b32_e32 v3, 0
	v_lshlrev_b64 v[2:3], 3, v[2:3]
	s_movk_i32 s6, 0xa8
	s_mov_b32 s13, 1
	s_waitcnt lgkmcnt(0)
	v_add_co_u32_e32 v2, vcc, v6, v2
	v_addc_co_u32_e32 v3, vcc, v7, v3, vcc
	flat_load_dwordx2 v[2:3], v[2:3]
	v_and_b32_e32 v6, 0xffff, v5
	s_waitcnt vmcnt(0) lgkmcnt(0)
	v_mad_u64_u32 v[2:3], s[6:7], v6, s6, v[2:3]
	flat_load_dwordx2 v[6:7], v[2:3] offset:504
	v_add_co_u32_e32 v28, vcc, 0x1f8, v2
	v_addc_co_u32_e32 v29, vcc, 0, v3, vcc
	s_waitcnt vmcnt(0) lgkmcnt(0)
	buffer_store_dword v6, off, s[0:3], s32 offset:104 ; 4-byte Folded Spill
	s_nop 0
	buffer_store_dword v7, off, s[0:3], s32 offset:108 ; 4-byte Folded Spill
	flat_load_dwordx2 v[34:35], v[2:3] offset:608
	v_cndmask_b32_e64 v3, 0, v29, s[4:5]
	v_cndmask_b32_e64 v2, 0, v28, s[4:5]
	s_branch .LBB4_19
.LBB4_18:
	v_mov_b32_e32 v28, 0
	v_mov_b32_e32 v2, 0
	;; [unrolled: 1-line block ×4, first 2 shown]
                                        ; implicit-def: $vgpr34_vgpr35
                                        ; implicit-def: $vgpr6_vgpr7
                                        ; kill: killed $vgpr6_vgpr7
.LBB4_19:
	s_trap 2
	ds_read_b32 v13, v0
	s_waitcnt lgkmcnt(0)
	v_cmp_gt_i32_e32 vcc, 0, v13
	s_cbranch_vccnz .LBB4_21
; %bb.20:
	s_trap 2
	ds_read_b64 v[6:7], v0
	v_mov_b32_e32 v14, 0
	v_lshlrev_b64 v[8:9], 3, v[13:14]
	v_and_b32_e32 v5, 0xffff, v5
	s_movk_i32 s4, 0xa8
	s_waitcnt lgkmcnt(0)
	v_add_co_u32_e32 v6, vcc, v6, v8
	v_addc_co_u32_e32 v7, vcc, v7, v9, vcc
	flat_load_dwordx2 v[6:7], v[6:7]
	v_cmp_eq_u32_e32 vcc, 0, v4
	s_waitcnt vmcnt(0) lgkmcnt(0)
	v_mad_u64_u32 v[8:9], s[4:5], v5, s4, v[6:7]
	flat_load_dwordx2 v[5:6], v[8:9]
	v_cndmask_b32_e32 v16, 0, v9, vcc
	v_cndmask_b32_e32 v15, 0, v8, vcc
	s_waitcnt vmcnt(0) lgkmcnt(0)
	buffer_store_dword v5, off, s[0:3], s32 offset:76 ; 4-byte Folded Spill
	s_nop 0
	buffer_store_dword v6, off, s[0:3], s32 offset:80 ; 4-byte Folded Spill
	flat_load_dwordx2 v[21:22], v[8:9] offset:104
	s_branch .LBB4_22
.LBB4_21:
	v_mov_b32_e32 v15, 0
	v_mov_b32_e32 v16, 0
                                        ; implicit-def: $vgpr21_vgpr22
                                        ; implicit-def: $vgpr5_vgpr6
                                        ; kill: killed $vgpr5_vgpr6
.LBB4_22:
	v_subrev_u32_e32 v5, 64, v1
	v_cmp_ge_i32_e32 vcc, v10, v5
	v_cmp_gt_u32_e64 s[4:5], s13, v4
	v_mov_b32_e32 v13, 0
	v_mov_b32_e32 v4, 0
	;; [unrolled: 1-line block ×4, first 2 shown]
	s_and_b64 s[22:23], vcc, s[4:5]
	buffer_store_dword v4, off, s[0:3], s32 offset:96 ; 4-byte Folded Spill
	s_nop 0
	buffer_store_dword v5, off, s[0:3], s32 offset:100 ; 4-byte Folded Spill
                                        ; implicit-def: $vgpr43_vgpr44
	s_and_saveexec_b64 s[4:5], s[22:23]
	s_cbranch_execz .LBB4_24
; %bb.23:
	flat_load_dwordx2 v[4:5], v[2:3] offset:56
	s_waitcnt vmcnt(0) lgkmcnt(0)
	buffer_store_dword v4, off, s[0:3], s32 offset:96 ; 4-byte Folded Spill
	s_nop 0
	buffer_store_dword v5, off, s[0:3], s32 offset:100 ; 4-byte Folded Spill
	flat_load_dwordx2 v[43:44], v[2:3] offset:104
.LBB4_24:
	s_or_b64 exec, exec, s[4:5]
	v_mov_b32_e32 v50, 0
	v_mov_b32_e32 v51, 0
	v_cmp_gt_u32_e64 s[4:5], s13, v10
                                        ; implicit-def: $vgpr52_vgpr53
	s_and_saveexec_b64 s[6:7], s[4:5]
	s_cbranch_execz .LBB4_26
; %bb.25:
	flat_load_dwordx2 v[50:51], v[15:16] offset:56
	s_waitcnt vmcnt(0) lgkmcnt(0)
	flat_load_dwordx2 v[52:53], v[50:51] glc
	s_waitcnt vmcnt(0)
	flat_load_dwordx4 v[13:16], v[15:16] offset:96
.LBB4_26:
	s_or_b64 exec, exec, s[6:7]
	v_mov_b32_e32 v40, 0
	v_cmp_ne_u64_e32 vcc, 0, v[26:27]
	v_mov_b32_e32 v41, 0
	s_and_saveexec_b64 s[24:25], vcc
	s_cbranch_execnz .LBB4_30
; %bb.27:
	s_or_b64 exec, exec, s[24:25]
	s_and_saveexec_b64 s[6:7], s[22:23]
	s_cbranch_execnz .LBB4_1469
.LBB4_28:
	s_or_b64 exec, exec, s[6:7]
	s_and_saveexec_b64 s[6:7], s[4:5]
	s_cbranch_execnz .LBB4_1470
.LBB4_29:
	s_or_b64 exec, exec, s[6:7]
	v_cmp_ne_u32_e32 vcc, 64, v1
	s_and_saveexec_b64 s[4:5], vcc
	s_cbranch_execnz .LBB4_1471
	s_branch .LBB4_1488
.LBB4_30:
	v_add_co_u32_e32 v2, vcc, v17, v24
	s_ashr_i32 s6, s8, 31
	v_addc_co_u32_e32 v4, vcc, v18, v25, vcc
	s_lshr_b32 s6, s6, 29
	v_add_co_u32_e32 v2, vcc, v2, v19
	s_ashr_i32 s21, s20, 31
	s_add_i32 s8, s8, s6
	v_addc_co_u32_e32 v0, vcc, v4, v0, vcc
	s_lshl_b64 s[6:7], s[20:21], 2
	buffer_store_dword v28, off, s[0:3], s32 offset:260 ; 4-byte Folded Spill
	s_nop 0
	buffer_store_dword v29, off, s[0:3], s32 offset:264 ; 4-byte Folded Spill
	buffer_store_dword v8, off, s[0:3], s32 offset:252 ; 4-byte Folded Spill
	s_nop 0
	buffer_store_dword v9, off, s[0:3], s32 offset:256 ; 4-byte Folded Spill
	buffer_store_dword v2, off, s[0:3], s32 offset:88 ; 4-byte Folded Spill
	;; [unrolled: 1-line block ×3, first 2 shown]
	v_mov_b32_e32 v0, s7
	v_add_co_u32_e32 v2, vcc, s6, v60
	v_addc_co_u32_e32 v0, vcc, v61, v0, vcc
	v_add_co_u32_e32 v4, vcc, -4, v2
	v_addc_co_u32_e32 v5, vcc, -1, v0, vcc
	v_and_b32_e32 v0, 63, v31
	v_cmp_eq_u32_e64 s[12:13], 0, v0
	v_lshrrev_b32_e32 v0, 6, v1
	buffer_store_dword v4, off, s[0:3], s32 offset:188 ; 4-byte Folded Spill
	s_nop 0
	buffer_store_dword v5, off, s[0:3], s32 offset:192 ; 4-byte Folded Spill
	s_waitcnt vmcnt(0)
	buffer_store_dword v11, off, s[0:3], s32 offset:248 ; 4-byte Folded Spill
	buffer_store_dword v31, off, s[0:3], s32 offset:244 ; 4-byte Folded Spill
	;; [unrolled: 1-line block ×3, first 2 shown]
	buffer_load_dword v4, off, s[0:3], s32 offset:204 ; 4-byte Folded Reload
	buffer_load_dword v5, off, s[0:3], s32 offset:208 ; 4-byte Folded Reload
	;; [unrolled: 1-line block ×4, first 2 shown]
	v_cmp_ne_u32_sdwa s[40:41], v1, v11 src0_sel:DWORD src1_sel:WORD_0
	v_lshlrev_b32_e32 v11, 3, v10
	s_ashr_i32 s10, s8, 3
	s_and_b32 s21, s10, -16
	v_cmp_ne_u32_e64 s[10:11], 64, v1
	v_lshlrev_b32_e32 v25, 3, v1
	v_mov_b32_e32 v3, 0
	s_ashr_i32 s36, s8, 7
	v_cmp_ne_u64_e64 s[6:7], 0, v[50:51]
	s_waitcnt lgkmcnt(0)
	v_cmp_ne_u64_e64 s[8:9], 0, v[13:14]
	s_cmp_gt_i32 s20, 2
	s_mov_b32 s46, -1
	v_mov_b32_e32 v58, 0
	v_mov_b32_e32 v40, 0
	;; [unrolled: 1-line block ×3, first 2 shown]
	v_and_b32_e32 v28, 0x1fffff0, v20
	s_mov_b32 s27, 0
	v_mov_b32_e32 v29, v3
	s_mov_b64 s[28:29], 0
	s_cselect_b64 s[42:43], -1, 0
	s_mov_b64 s[44:45], 0x7ffffff8
	s_movk_i32 s37, 0xff
	s_movk_i32 s38, 0xff80
	;; [unrolled: 1-line block ×3, first 2 shown]
	s_mov_b32 s47, 0xffffff
	s_mov_b64 s[56:57], 0x7f800000
	s_movk_i32 s48, 0x80
	s_mov_b64 s[58:59], 0x47600001
	s_movk_i32 s49, 0x72
	;; [unrolled: 2-line block ×3, first 2 shown]
	s_mov_b32 s51, 0x7c0000
	s_brev_b32 s52, 62
	v_mov_b32_e32 v54, 0x7f800000
	v_mov_b32_e32 v55, 0x7f800001
	;; [unrolled: 1-line block ×4, first 2 shown]
	v_bfrev_b32_e32 v49, 0.5
	v_mov_b32_e32 v59, 0
	v_mov_b32_e32 v41, 0
	;; [unrolled: 1-line block ×3, first 2 shown]
	s_waitcnt vmcnt(1)
	v_add_co_u32_e32 v0, vcc, v6, v11
	buffer_store_dword v0, off, s[0:3], s32 offset:220 ; 4-byte Folded Spill
	s_waitcnt vmcnt(1)
	v_addc_co_u32_e32 v0, vcc, 0, v7, vcc
	buffer_store_dword v0, off, s[0:3], s32 offset:224 ; 4-byte Folded Spill
	v_add_co_u32_e32 v0, vcc, v4, v11
	buffer_load_dword v8, off, s[0:3], s32 offset:96 ; 4-byte Folded Reload
	buffer_load_dword v9, off, s[0:3], s32 offset:100 ; 4-byte Folded Reload
	s_waitcnt vmcnt(0)
	v_cmp_ne_u64_e64 s[14:15], 0, v[8:9]
	buffer_store_dword v0, off, s[0:3], s32 offset:228 ; 4-byte Folded Spill
	v_addc_co_u32_e32 v0, vcc, 0, v5, vcc
	buffer_store_dword v0, off, s[0:3], s32 offset:232 ; 4-byte Folded Spill
	buffer_load_dword v4, off, s[0:3], s32 offset:156 ; 4-byte Folded Reload
	buffer_load_dword v5, off, s[0:3], s32 offset:160 ; 4-byte Folded Reload
	v_mov_b32_e32 v8, 0xff800000
	buffer_store_dword v11, off, s[0:3], s32 offset:152 ; 4-byte Folded Spill
	v_mov_b32_e32 v9, 0
	s_waitcnt vmcnt(2)
	v_add_co_u32_e32 v0, vcc, v4, v6
	s_waitcnt vmcnt(1)
	v_addc_co_u32_e32 v2, vcc, v5, v7, vcc
	v_add_co_u32_e32 v4, vcc, v0, v11
	v_addc_co_u32_e32 v5, vcc, 0, v2, vcc
	v_lshlrev_b32_e32 v0, 6, v1
	buffer_store_dword v4, off, s[0:3], s32 offset:136 ; 4-byte Folded Spill
	s_nop 0
	buffer_store_dword v5, off, s[0:3], s32 offset:140 ; 4-byte Folded Spill
	buffer_store_dword v0, off, s[0:3], s32 offset:84 ; 4-byte Folded Spill
	v_mov_b32_e32 v0, v10
	buffer_store_dword v0, off, s[0:3], s32 offset:60 ; 4-byte Folded Spill
	s_nop 0
	buffer_store_dword v1, off, s[0:3], s32 offset:64 ; 4-byte Folded Spill
	buffer_load_dword v6, off, s[0:3], s32 offset:76 ; 4-byte Folded Reload
	buffer_load_dword v7, off, s[0:3], s32 offset:80 ; 4-byte Folded Reload
	v_mov_b32_e32 v11, v3
	v_lshlrev_b64 v[4:5], 4, v[10:11]
	v_mov_b32_e32 v2, v3
	v_mov_b32_e32 v11, 0x7c
	s_waitcnt vmcnt(1)
	v_add_co_u32_e32 v0, vcc, v6, v4
	buffer_store_dword v0, off, s[0:3], s32 offset:236 ; 4-byte Folded Spill
	s_waitcnt vmcnt(1)
	v_addc_co_u32_e32 v0, vcc, v7, v5, vcc
	v_lshlrev_b64 v[5:6], 4, v[1:2]
	v_mov_b32_e32 v7, -1
	buffer_store_dword v0, off, s[0:3], s32 offset:240 ; 4-byte Folded Spill
	buffer_store_dword v15, off, s[0:3], s32 offset:164 ; 4-byte Folded Spill
	s_nop 0
	buffer_store_dword v16, off, s[0:3], s32 offset:168 ; 4-byte Folded Spill
	buffer_store_dword v17, off, s[0:3], s32 offset:172 ; 4-byte Folded Spill
	;; [unrolled: 1-line block ×4, first 2 shown]
	s_nop 0
	buffer_store_dword v29, off, s[0:3], s32 offset:184 ; 4-byte Folded Spill
	buffer_store_dword v60, off, s[0:3], s32 offset:120 ; 4-byte Folded Spill
	s_nop 0
	buffer_store_dword v61, off, s[0:3], s32 offset:124 ; 4-byte Folded Spill
	s_branch .LBB4_32
.LBB4_31:                               ;   in Loop: Header=BB4_32 Depth=1
	s_or_b64 exec, exec, s[16:17]
	buffer_load_dword v17, off, s[0:3], s32 offset:136 ; 4-byte Folded Reload
	buffer_load_dword v18, off, s[0:3], s32 offset:140 ; 4-byte Folded Reload
	v_add_co_u32_e32 v34, vcc, 1, v34
	v_addc_co_u32_e32 v35, vcc, 0, v35, vcc
	v_add_co_u32_e32 v58, vcc, v58, v28
	v_addc_co_u32_e32 v59, vcc, 0, v59, vcc
	s_waitcnt vmcnt(0)
	v_add_co_u32_e32 v17, vcc, v17, v28
	v_addc_co_u32_e32 v18, vcc, 0, v18, vcc
	v_cmp_ge_u64_e32 vcc, v[58:59], v[26:27]
	buffer_store_dword v17, off, s[0:3], s32 offset:136 ; 4-byte Folded Spill
	s_nop 0
	buffer_store_dword v18, off, s[0:3], s32 offset:140 ; 4-byte Folded Spill
	s_or_b64 s[28:29], vcc, s[28:29]
	s_andn2_b64 exec, exec, s[28:29]
	s_cbranch_execz .LBB4_1468
.LBB4_32:                               ; =>This Loop Header: Depth=1
                                        ;     Child Loop BB4_37 Depth 2
                                        ;     Child Loop BB4_56 Depth 2
	;; [unrolled: 1-line block ×5, first 2 shown]
                                        ;       Child Loop BB4_310 Depth 3
                                        ;       Child Loop BB4_329 Depth 3
	;; [unrolled: 1-line block ×3, first 2 shown]
                                        ;         Child Loop BB4_358 Depth 4
                                        ;       Child Loop BB4_885 Depth 3
                                        ;       Child Loop BB4_346 Depth 3
                                        ;     Child Loop BB4_900 Depth 2
                                        ;       Child Loop BB4_908 Depth 3
                                        ;     Child Loop BB4_1455 Depth 2
	buffer_load_dword v17, off, s[0:3], s32 offset:188 ; 4-byte Folded Reload
	buffer_load_dword v18, off, s[0:3], s32 offset:192 ; 4-byte Folded Reload
	s_waitcnt vmcnt(0) lgkmcnt(0)
	flat_load_dword v0, v[17:18]
	v_sub_co_u32_e32 v17, vcc, v26, v58
	v_subb_co_u32_e32 v18, vcc, v27, v59, vcc
	v_cmp_lt_u64_e32 vcc, v[28:29], v[17:18]
	v_cndmask_b32_e32 v4, v17, v28, vcc
	v_lshl_add_u32 v2, v4, 1, 14
	v_and_b32_e32 v2, 0x7fffff0, v2
	buffer_store_dword v2, off, s[0:3], s32 offset:128 ; 4-byte Folded Spill
	s_and_saveexec_b64 s[18:19], s[6:7]
	s_cbranch_execz .LBB4_48
; %bb.33:                               ;   in Loop: Header=BB4_32 Depth=1
	v_add_co_u32_e32 v17, vcc, 1, v15
	v_addc_co_u32_e32 v18, vcc, 0, v16, vcc
	v_add_co_u32_e32 v19, vcc, 8, v52
	v_addc_co_u32_e32 v20, vcc, 0, v53, vcc
	v_cmp_lt_u64_e32 vcc, v[19:20], v[17:18]
	s_and_saveexec_b64 s[62:63], vcc
	s_cbranch_execz .LBB4_45
; %bb.34:                               ;   in Loop: Header=BB4_32 Depth=1
	s_mov_b32 s26, 0
	v_cmp_eq_u32_e32 vcc, 0, v9
	s_mov_b64 s[72:73], 0
                                        ; implicit-def: $sgpr74_sgpr75
                                        ; implicit-def: $sgpr76_sgpr77
                                        ; implicit-def: $sgpr78_sgpr79
	s_branch .LBB4_37
.LBB4_35:                               ;   in Loop: Header=BB4_37 Depth=2
	s_or_b64 exec, exec, s[30:31]
	s_andn2_b64 s[16:17], s[78:79], exec
	s_and_b64 s[78:79], s[92:93], exec
	s_or_b64 s[78:79], s[16:17], s[78:79]
	s_andn2_b64 s[16:17], s[76:77], exec
	s_and_b64 s[76:77], s[90:91], exec
	s_or_b64 s[76:77], s[16:17], s[76:77]
.LBB4_36:                               ;   in Loop: Header=BB4_37 Depth=2
	s_or_b64 exec, exec, s[88:89]
	s_and_b64 s[16:17], exec, s[76:77]
	s_or_b64 s[72:73], s[16:17], s[72:73]
	s_andn2_b64 s[16:17], s[74:75], exec
	s_and_b64 s[74:75], s[78:79], exec
	s_or_b64 s[74:75], s[16:17], s[74:75]
	s_andn2_b64 exec, exec, s[72:73]
	s_cbranch_execz .LBB4_42
.LBB4_37:                               ;   Parent Loop BB4_32 Depth=1
                                        ; =>  This Inner Loop Header: Depth=2
	s_sleep 1
	s_waitcnt vmcnt(0) lgkmcnt(0)
	flat_load_dwordx2 v[52:53], v[50:51] glc
	v_mov_b32_e32 v9, 1
	s_or_b64 s[78:79], s[78:79], exec
	s_or_b64 s[76:77], s[76:77], exec
                                        ; implicit-def: $vgpr2
	s_and_saveexec_b64 s[88:89], vcc
	s_cbranch_execz .LBB4_36
; %bb.38:                               ;   in Loop: Header=BB4_37 Depth=2
	s_add_i32 s26, s26, 1
	s_cmpk_lg_i32 s26, 0x2710
	s_cselect_b64 s[94:95], -1, 0
	s_cmpk_eq_i32 s26, 0x2710
	s_mov_b64 s[90:91], -1
	s_mov_b64 s[92:93], -1
                                        ; implicit-def: $vgpr2
	s_cbranch_scc1 .LBB4_40
; %bb.39:                               ;   in Loop: Header=BB4_37 Depth=2
	v_mov_b32_e32 v9, 1
	s_and_saveexec_b64 s[30:31], s[94:95]
	s_cbranch_execz .LBB4_35
	s_branch .LBB4_41
.LBB4_40:                               ;   in Loop: Header=BB4_37 Depth=2
	s_trap 2
	s_waitcnt vmcnt(0) lgkmcnt(0)
	ds_read_b64 v[9:10], v0
	s_andn2_b64 s[94:95], s[94:95], exec
	s_mov_b32 s26, 0
	s_mov_b64 s[92:93], 0
	s_waitcnt lgkmcnt(0)
	flat_load_dword v2, v[9:10] glc
	s_waitcnt vmcnt(0) lgkmcnt(0)
	buffer_wbinvl1_vol
	v_cmp_eq_u32_e64 s[16:17], 0, v2
	s_and_b64 s[16:17], s[16:17], exec
	s_or_b64 s[94:95], s[94:95], s[16:17]
	v_mov_b32_e32 v9, 1
	s_and_saveexec_b64 s[30:31], s[94:95]
	s_cbranch_execz .LBB4_35
.LBB4_41:                               ;   in Loop: Header=BB4_37 Depth=2
	s_waitcnt vmcnt(0) lgkmcnt(0)
	v_add_co_u32_e64 v9, s[16:17], 8, v52
	v_addc_co_u32_e64 v10, s[16:17], 0, v53, s[16:17]
	v_cmp_ge_u64_e64 s[16:17], v[9:10], v[17:18]
	v_mov_b32_e32 v9, 0
	s_or_b64 s[92:93], s[92:93], exec
	s_orn2_b64 s[90:91], s[16:17], exec
	s_branch .LBB4_35
.LBB4_42:                               ;   in Loop: Header=BB4_32 Depth=1
	s_or_b64 exec, exec, s[72:73]
	s_xor_b64 s[16:17], s[74:75], -1
	s_and_saveexec_b64 s[72:73], s[16:17]
	s_xor_b64 s[16:17], exec, s[72:73]
	s_cbranch_execz .LBB4_44
; %bb.43:                               ;   in Loop: Header=BB4_32 Depth=1
	v_mov_b32_e32 v9, 1
	s_waitcnt vmcnt(0) lgkmcnt(0)
	ds_write_b32 v0, v2
	s_trap 2
.LBB4_44:                               ;   in Loop: Header=BB4_32 Depth=1
	s_or_b64 exec, exec, s[16:17]
.LBB4_45:                               ;   in Loop: Header=BB4_32 Depth=1
	s_or_b64 exec, exec, s[62:63]
	s_and_saveexec_b64 s[16:17], s[8:9]
	s_cbranch_execz .LBB4_47
; %bb.46:                               ;   in Loop: Header=BB4_32 Depth=1
	v_and_b32_e32 v2, 0x7ffffff8, v15
	v_cmp_eq_u64_e32 vcc, s[44:45], v[2:3]
	buffer_load_dword v2, off, s[0:3], s32 offset:128 ; 4-byte Folded Reload
	v_and_b32_e32 v10, 7, v15
	v_mad_u64_u32 v[15:16], s[62:63], v10, 24, v[13:14]
	v_mov_b32_e32 v10, s21
	s_waitcnt vmcnt(0)
	v_cndmask_b32_e32 v19, v2, v10, vcc
	v_ashrrev_i32_e32 v20, 31, v19
	flat_store_dwordx2 v[15:16], v[19:20] offset:8
	s_waitcnt vmcnt(0)
.LBB4_47:                               ;   in Loop: Header=BB4_32 Depth=1
	s_or_b64 exec, exec, s[16:17]
	v_mov_b32_e32 v15, v17
	v_mov_b32_e32 v16, v18
.LBB4_48:                               ;   in Loop: Header=BB4_32 Depth=1
	s_or_b64 exec, exec, s[18:19]
	s_and_saveexec_b64 s[16:17], s[10:11]
	s_cbranch_execz .LBB4_67
; %bb.49:                               ;   in Loop: Header=BB4_32 Depth=1
	s_and_saveexec_b64 s[18:19], s[40:41]
	s_xor_b64 s[18:19], exec, s[18:19]
	s_cbranch_execz .LBB4_64
; %bb.50:                               ;   in Loop: Header=BB4_32 Depth=1
	s_and_saveexec_b64 s[62:63], s[12:13]
	s_cbranch_execz .LBB4_63
; %bb.51:                               ;   in Loop: Header=BB4_32 Depth=1
	s_mov_b64 s[74:75], exec
	v_mbcnt_lo_u32_b32 v2, s74, 0
	v_mbcnt_hi_u32_b32 v2, s75, v2
	v_cmp_eq_u32_e32 vcc, 0, v2
	s_waitcnt vmcnt(0) lgkmcnt(0)
	buffer_wbinvl1_vol
	s_and_saveexec_b64 s[72:73], vcc
	s_cbranch_execz .LBB4_53
; %bb.52:                               ;   in Loop: Header=BB4_32 Depth=1
	s_bcnt1_i32_b64 s26, s[74:75]
	v_mov_b32_e32 v2, s26
	ds_add_u64 v0, v[2:3]
	s_trap 2
.LBB4_53:                               ;   in Loop: Header=BB4_32 Depth=1
	s_or_b64 exec, exec, s[72:73]
	s_trap 2
	ds_read_b64 v[17:18], v0
	s_waitcnt lgkmcnt(0)
	buffer_load_dword v2, off, s[0:3], s32 offset:132 ; 4-byte Folded Reload
	s_waitcnt vmcnt(0)
	v_add_co_u32_e32 v40, vcc, v40, v2
	v_addc_co_u32_e32 v41, vcc, 0, v41, vcc
	v_cmp_lt_u64_e32 vcc, v[17:18], v[40:41]
	s_and_saveexec_b64 s[72:73], vcc
	s_cbranch_execz .LBB4_62
; %bb.54:                               ;   in Loop: Header=BB4_32 Depth=1
	s_mov_b32 s26, 0
	s_mov_b64 s[74:75], 0
                                        ; implicit-def: $sgpr76_sgpr77
                                        ; implicit-def: $sgpr78_sgpr79
	s_branch .LBB4_56
.LBB4_55:                               ;   in Loop: Header=BB4_56 Depth=2
	s_or_b64 exec, exec, s[90:91]
	s_and_b64 s[88:89], exec, s[92:93]
	s_or_b64 s[74:75], s[88:89], s[74:75]
	s_andn2_b64 s[76:77], s[76:77], exec
	s_and_b64 s[88:89], s[78:79], exec
	s_or_b64 s[76:77], s[76:77], s[88:89]
	s_andn2_b64 exec, exec, s[74:75]
	s_cbranch_execz .LBB4_60
.LBB4_56:                               ;   Parent Loop BB4_32 Depth=1
                                        ; =>  This Inner Loop Header: Depth=2
	s_add_i32 s26, s26, 1
	s_cmpk_lg_i32 s26, 0x2710
	s_cselect_b64 s[88:89], -1, 0
	s_and_b64 vcc, exec, s[88:89]
	s_cbranch_vccz .LBB4_58
; %bb.57:                               ;   in Loop: Header=BB4_56 Depth=2
	s_mov_b64 s[92:93], -1
	s_or_b64 s[78:79], s[78:79], exec
	s_and_saveexec_b64 s[90:91], s[88:89]
	s_cbranch_execz .LBB4_55
	s_branch .LBB4_59
.LBB4_58:                               ;   in Loop: Header=BB4_56 Depth=2
	s_trap 2
	ds_read_b64 v[17:18], v0
	s_andn2_b64 s[88:89], s[88:89], exec
	s_mov_b32 s26, 0
	s_waitcnt lgkmcnt(0)
	flat_load_dword v2, v[17:18] glc
	s_waitcnt vmcnt(0) lgkmcnt(0)
	buffer_wbinvl1_vol
	v_cmp_eq_u32_e32 vcc, 0, v2
	s_and_b64 s[90:91], vcc, exec
	s_or_b64 s[88:89], s[88:89], s[90:91]
	s_mov_b64 s[92:93], -1
	s_or_b64 s[78:79], s[78:79], exec
	s_and_saveexec_b64 s[90:91], s[88:89]
	s_cbranch_execz .LBB4_55
.LBB4_59:                               ;   in Loop: Header=BB4_56 Depth=2
	s_sleep 1
	s_trap 2
	ds_read_b64 v[17:18], v0
	s_waitcnt lgkmcnt(0)
	s_andn2_b64 s[78:79], s[78:79], exec
	v_cmp_ge_u64_e32 vcc, v[17:18], v[40:41]
	s_orn2_b64 s[92:93], vcc, exec
	s_branch .LBB4_55
.LBB4_60:                               ;   in Loop: Header=BB4_32 Depth=1
	s_or_b64 exec, exec, s[74:75]
	s_and_saveexec_b64 s[74:75], s[76:77]
	s_xor_b64 s[74:75], exec, s[74:75]
	s_cbranch_execz .LBB4_62
; %bb.61:                               ;   in Loop: Header=BB4_32 Depth=1
	v_mov_b32_e32 v2, 1
	ds_write_b32 v0, v2
	s_trap 2
.LBB4_62:                               ;   in Loop: Header=BB4_32 Depth=1
	s_or_b64 exec, exec, s[72:73]
	;;#ASMSTART
	s_wakeup
	;;#ASMEND
.LBB4_63:                               ;   in Loop: Header=BB4_32 Depth=1
	s_or_b64 exec, exec, s[62:63]
.LBB4_64:                               ;   in Loop: Header=BB4_32 Depth=1
	s_andn2_saveexec_b64 s[18:19], s[18:19]
	s_cbranch_execz .LBB4_66
; %bb.65:                               ;   in Loop: Header=BB4_32 Depth=1
	s_waitcnt vmcnt(0) lgkmcnt(0)
	buffer_wbinvl1_vol
	s_barrier
.LBB4_66:                               ;   in Loop: Header=BB4_32 Depth=1
	s_or_b64 exec, exec, s[18:19]
.LBB4_67:                               ;   in Loop: Header=BB4_32 Depth=1
	s_or_b64 exec, exec, s[16:17]
	buffer_load_dword v2, off, s[0:3], s32 offset:152 ; 4-byte Folded Reload
	buffer_load_dword v29, off, s[0:3], s32 offset:60 ; 4-byte Folded Reload
	buffer_load_dword v30, off, s[0:3], s32 offset:64 ; 4-byte Folded Reload
	v_and_b32_e32 v10, 7, v21
	v_add_u32_e32 v18, 1, v21
	s_waitcnt vmcnt(0)
	v_sub_u32_e32 v4, v4, v2
	v_cmp_lt_i32_e64 s[16:17], 0, v4
	s_and_saveexec_b64 s[62:63], s[16:17]
	s_cbranch_execz .LBB4_299
; %bb.68:                               ;   in Loop: Header=BB4_32 Depth=1
	buffer_load_dword v20, off, s[0:3], s32 offset:88 ; 4-byte Folded Reload
	buffer_load_dword v23, off, s[0:3], s32 offset:136 ; 4-byte Folded Reload
	;; [unrolled: 1-line block ×4, first 2 shown]
	s_waitcnt lgkmcnt(0)
	v_ashrrev_i32_e32 v2, 31, v0
	v_mul_lo_u32 v19, v10, s36
	s_mov_b64 s[72:73], 0
	v_mov_b32_e32 v30, v4
	s_waitcnt vmcnt(3)
	v_mul_lo_u32 v2, v20, v2
	s_waitcnt vmcnt(1)
	v_mad_u64_u32 v[46:47], s[18:19], v20, v0, v[23:24]
	s_waitcnt vmcnt(0)
	v_mul_lo_u32 v17, v17, v0
	v_mul_lo_u32 v0, v20, v0
	v_ashrrev_i32_e32 v20, 31, v19
	v_lshlrev_b64 v[19:20], 4, v[19:20]
	v_add3_u32 v47, v17, v47, v2
	v_add_lshl_u32 v26, v23, v0, 3
	buffer_load_dword v0, off, s[0:3], s32 offset:236 ; 4-byte Folded Reload
	s_waitcnt vmcnt(0)
	v_add_co_u32_e32 v56, vcc, v0, v19
	buffer_load_dword v0, off, s[0:3], s32 offset:240 ; 4-byte Folded Reload
	s_waitcnt vmcnt(0)
	v_addc_co_u32_e32 v57, vcc, v0, v20, vcc
	buffer_load_dword v19, off, s[0:3], s32 offset:60 ; 4-byte Folded Reload
	buffer_load_dword v20, off, s[0:3], s32 offset:64 ; 4-byte Folded Reload
	s_waitcnt vmcnt(1)
	v_mov_b32_e32 v29, v19
	s_branch .LBB4_71
.LBB4_69:                               ;   in Loop: Header=BB4_71 Depth=2
	s_or_b64 exec, exec, s[74:75]
.LBB4_70:                               ;   in Loop: Header=BB4_71 Depth=2
	s_or_b64 exec, exec, s[18:19]
	v_lshlrev_b32_e32 v0, 8, v23
	v_lshlrev_b32_e32 v2, 16, v24
	v_or3_b32 v0, v0, v17, v2
	v_lshlrev_b32_e32 v2, 24, v31
	v_lshlrev_b32_e32 v17, 8, v33
	;; [unrolled: 1-line block ×3, first 2 shown]
	v_or3_b32 v20, v17, v32, v20
	v_or3_b32 v17, v0, v2, 0
	buffer_load_dword v0, off, s[0:3], s32 offset:84 ; 4-byte Folded Reload
	v_add_co_u32_e32 v46, vcc, v46, v25
	v_lshlrev_b32_e32 v19, 24, v19
	v_sub_u32_e32 v30, v30, v25
	v_addc_co_u32_e32 v47, vcc, 0, v47, vcc
	v_or3_b32 v19, v20, v19, 0
	v_mov_b32_e32 v20, v18
	v_cmp_gt_i32_e32 vcc, 1, v30
	global_store_dwordx4 v[56:57], v[17:20], off
	s_or_b64 s[72:73], vcc, s[72:73]
	v_add_co_u32_e32 v56, vcc, v56, v5
	v_add_u32_e32 v29, v29, v1
	v_addc_co_u32_e32 v57, vcc, v57, v6, vcc
	s_waitcnt vmcnt(1)
	v_add_u32_e32 v26, v26, v0
	s_andn2_b64 exec, exec, s[72:73]
	s_cbranch_execz .LBB4_298
.LBB4_71:                               ;   Parent Loop BB4_32 Depth=1
                                        ; =>  This Inner Loop Header: Depth=2
	v_and_b32_e32 v19, -4, v46
	s_waitcnt vmcnt(0)
	v_mov_b32_e32 v20, v47
	global_load_dword v0, v[19:20], off glc slc
	v_min_u32_e32 v2, 8, v30
	v_and_b32_e32 v17, 3, v46
	v_add_u32_e32 v2, v17, v2
	v_cmp_lt_u32_e32 vcc, 4, v2
	v_mov_b32_e32 v32, 0
	v_mov_b32_e32 v33, 0
	s_and_saveexec_b64 s[18:19], vcc
	s_cbranch_execz .LBB4_73
; %bb.72:                               ;   in Loop: Header=BB4_71 Depth=2
	global_load_dword v33, v[19:20], off offset:4 glc slc
.LBB4_73:                               ;   in Loop: Header=BB4_71 Depth=2
	s_or_b64 exec, exec, s[18:19]
	v_cmp_lt_u64_e32 vcc, 8, v[2:3]
	s_and_saveexec_b64 s[18:19], vcc
	s_cbranch_execz .LBB4_75
; %bb.74:                               ;   in Loop: Header=BB4_71 Depth=2
	global_load_dword v32, v[19:20], off offset:8 glc slc
.LBB4_75:                               ;   in Loop: Header=BB4_71 Depth=2
	s_or_b64 exec, exec, s[18:19]
	s_waitcnt vmcnt(0)
	v_alignbit_b32 v2, v33, v0, v26
	v_cmp_ne_u16_sdwa s[74:75], v2, v3 src0_sel:BYTE_0 src1_sel:DWORD
	v_mov_b32_e32 v0, 0
	s_and_saveexec_b64 s[18:19], s[74:75]
	s_cbranch_execz .LBB4_83
; %bb.76:                               ;   in Loop: Header=BB4_71 Depth=2
	v_cmp_ne_u16_sdwa s[76:77], sext(v2), s38 src0_sel:BYTE_0 src1_sel:DWORD
	v_bfrev_b32_e32 v0, 1
	s_and_saveexec_b64 s[74:75], s[76:77]
	s_cbranch_execz .LBB4_82
; %bb.77:                               ;   in Loop: Header=BB4_71 Depth=2
	v_and_b32_e32 v0, 0x7c, v2
	v_and_b32_e32 v17, 3, v2
	v_cmp_ne_u32_e32 vcc, s39, v0
                                        ; implicit-def: $vgpr0
	s_and_saveexec_b64 s[76:77], vcc
	s_xor_b64 s[76:77], exec, s[76:77]
	s_cbranch_execz .LBB4_79
; %bb.78:                               ;   in Loop: Header=BB4_71 Depth=2
	v_ffbh_u32_e32 v19, v17
	v_min_u32_e32 v23, 32, v19
	v_subrev_u32_e32 v19, 29, v23
	v_lshlrev_b64 v[19:20], v19, v[2:3]
	v_bfe_u32 v0, v2, 2, 5
	v_and_b32_e32 v19, 3, v19
	v_cmp_eq_u32_e32 vcc, 0, v0
	v_sub_u32_e32 v20, 30, v23
	v_cndmask_b32_e32 v17, v17, v19, vcc
	v_lshlrev_b32_e32 v19, 24, v2
	v_cndmask_b32_e32 v0, v0, v20, vcc
	v_and_b32_e32 v19, 0x80000000, v19
	v_lshl_add_u32 v0, v0, 23, v19
	v_lshl_or_b32 v0, v17, 21, v0
	v_add_u32_e32 v0, 0x38000000, v0
                                        ; implicit-def: $vgpr17
.LBB4_79:                               ;   in Loop: Header=BB4_71 Depth=2
	s_andn2_saveexec_b64 s[76:77], s[76:77]
; %bb.80:                               ;   in Loop: Header=BB4_71 Depth=2
	v_cmp_gt_i16_sdwa vcc, sext(v2), v7 src0_sel:BYTE_0 src1_sel:DWORD
	v_cndmask_b32_e32 v0, v8, v54, vcc
	v_cmp_eq_u32_e32 vcc, 0, v17
	v_cndmask_b32_e32 v0, v55, v0, vcc
; %bb.81:                               ;   in Loop: Header=BB4_71 Depth=2
	s_or_b64 exec, exec, s[76:77]
.LBB4_82:                               ;   in Loop: Header=BB4_71 Depth=2
	s_or_b64 exec, exec, s[74:75]
.LBB4_83:                               ;   in Loop: Header=BB4_71 Depth=2
	s_or_b64 exec, exec, s[18:19]
	v_mul_f32_e32 v23, v62, v0
	v_and_b32_e32 v27, 0x7f800000, v23
	v_mov_b32_e32 v28, v3
	v_cmp_ne_u64_e32 vcc, s[56:57], v[27:28]
	v_and_b32_e32 v19, 0x7fffff, v23
	v_mov_b32_e32 v20, v3
                                        ; implicit-def: $vgpr17
	s_and_saveexec_b64 s[18:19], vcc
	s_xor_b64 s[74:75], exec, s[18:19]
	s_cbranch_execz .LBB4_97
; %bb.84:                               ;   in Loop: Header=BB4_71 Depth=2
	v_and_b32_e32 v27, 0x7fffffff, v23
	v_mov_b32_e32 v28, v3
	v_cmp_gt_u64_e32 vcc, s[58:59], v[27:28]
	v_and_b32_sdwa v0, v23, s48 dst_sel:DWORD dst_unused:UNUSED_PAD src0_sel:BYTE_3 src1_sel:DWORD
                                        ; implicit-def: $vgpr17
	s_and_saveexec_b64 s[18:19], vcc
	s_xor_b64 s[76:77], exec, s[18:19]
	s_cbranch_execz .LBB4_94
; %bb.85:                               ;   in Loop: Header=BB4_71 Depth=2
	v_mov_b32_e32 v17, 0
	v_cmp_ne_u32_e32 vcc, 0, v23
	s_and_saveexec_b64 s[78:79], vcc
	s_cbranch_execz .LBB4_93
; %bb.86:                               ;   in Loop: Header=BB4_71 Depth=2
	v_bfe_u32 v17, v23, 23, 8
	v_cmp_gt_u32_e64 s[18:19], s49, v17
	v_sub_u32_e32 v23, 0x71, v17
	v_cmp_eq_u32_e32 vcc, 0, v17
	v_cndmask_b32_e64 v23, 0, v23, s[18:19]
	v_or_b32_e32 v24, 0x800000, v19
	v_cndmask_b32_e32 v23, v23, v12, vcc
	v_cndmask_b32_e32 v19, v24, v19, vcc
	v_add_u32_e32 v24, 21, v23
	v_lshlrev_b64 v[27:28], v24, -1
	v_add_u32_e32 v24, 20, v23
	v_bfi_b32 v27, v27, 0, v19
	v_lshlrev_b64 v[36:37], v24, 1
	v_lshrrev_b64 v[19:20], v23, v[19:20]
	v_bfi_b32 v28, v28, 0, 0
	v_cmp_eq_u64_e64 s[18:19], v[27:28], v[36:37]
	v_mov_b32_e32 v28, v20
	v_mov_b32_e32 v27, v19
	s_and_saveexec_b64 s[88:89], s[18:19]
; %bb.87:                               ;   in Loop: Header=BB4_71 Depth=2
	v_bfe_u32 v20, v19, 21, 1
	v_add_co_u32_e64 v20, s[18:19], v19, v20
	v_add_co_u32_e64 v27, s[18:19], -1, v20
; %bb.88:                               ;   in Loop: Header=BB4_71 Depth=2
	s_or_b64 exec, exec, s[88:89]
	v_add_u32_e32 v17, 0xffffff81, v17
	v_cndmask_b32_e32 v17, v17, v48, vcc
	v_lshrrev_b32_e32 v20, 23, v19
	v_add3_u32 v24, v23, v17, v20
	v_add_u32_e32 v23, 14, v24
	v_and_b32_e32 v17, 0x1fffff, v27
	v_add_u32_e32 v19, v17, v19
	v_mov_b32_e32 v20, v3
	v_cmp_ne_u32_e32 vcc, 0, v23
                                        ; implicit-def: $vgpr17
	s_and_saveexec_b64 s[18:19], vcc
	s_xor_b64 s[18:19], exec, s[18:19]
; %bb.89:                               ;   in Loop: Header=BB4_71 Depth=2
	v_cmp_lt_u64_e32 vcc, s[60:61], v[19:20]
	v_add_u32_e32 v17, 15, v24
	v_cndmask_b32_e32 v17, v23, v17, vcc
	v_cndmask_b32_e64 v23, 0, 1, vcc
	v_lshrrev_b64 v[19:20], v23, v[19:20]
; %bb.90:                               ;   in Loop: Header=BB4_71 Depth=2
	s_andn2_saveexec_b64 s[18:19], s[18:19]
; %bb.91:                               ;   in Loop: Header=BB4_71 Depth=2
	v_bfe_u32 v17, v19, 23, 1
; %bb.92:                               ;   in Loop: Header=BB4_71 Depth=2
	s_or_b64 exec, exec, s[18:19]
	v_lshrrev_b64 v[19:20], 21, v[19:20]
	v_cmp_gt_i32_e32 vcc, 32, v17
	v_cndmask_b32_e32 v20, 0, v20, vcc
	v_cndmask_b32_e32 v19, 3, v19, vcc
	v_cmp_eq_u32_e32 vcc, 0, v17
	v_min_i32_e32 v17, 31, v17
	v_cmp_eq_u64_e64 s[18:19], 0, v[19:20]
	v_lshlrev_b32_e32 v17, 2, v17
	v_and_b32_e32 v17, 0xfc, v17
	v_and_or_b32 v17, v19, 3, v17
	s_and_b64 s[18:19], vcc, s[18:19]
	v_cndmask_b32_e64 v17, v17, 0, s[18:19]
	v_or_b32_e32 v17, v17, v0
.LBB4_93:                               ;   in Loop: Header=BB4_71 Depth=2
	s_or_b64 exec, exec, s[78:79]
                                        ; implicit-def: $vgpr0
.LBB4_94:                               ;   in Loop: Header=BB4_71 Depth=2
	s_andn2_saveexec_b64 s[18:19], s[76:77]
; %bb.95:                               ;   in Loop: Header=BB4_71 Depth=2
	v_or_b32_e32 v17, 0x7b, v0
; %bb.96:                               ;   in Loop: Header=BB4_71 Depth=2
	s_or_b64 exec, exec, s[18:19]
                                        ; implicit-def: $vgpr23
                                        ; implicit-def: $vgpr19_vgpr20
.LBB4_97:                               ;   in Loop: Header=BB4_71 Depth=2
	s_andn2_saveexec_b64 s[18:19], s[74:75]
	s_cbranch_execz .LBB4_103
; %bb.98:                               ;   in Loop: Header=BB4_71 Depth=2
	v_cmp_ne_u64_e32 vcc, 0, v[19:20]
                                        ; implicit-def: $vgpr17
	s_and_saveexec_b64 s[74:75], vcc
	s_xor_b64 s[74:75], exec, s[74:75]
; %bb.99:                               ;   in Loop: Header=BB4_71 Depth=2
	v_or_b32_sdwa v17, v23, s50 dst_sel:DWORD dst_unused:UNUSED_PAD src0_sel:BYTE_3 src1_sel:DWORD
                                        ; implicit-def: $vgpr23
; %bb.100:                              ;   in Loop: Header=BB4_71 Depth=2
	s_andn2_saveexec_b64 s[74:75], s[74:75]
; %bb.101:                              ;   in Loop: Header=BB4_71 Depth=2
	v_cmp_lt_i32_e32 vcc, -1, v23
	v_cndmask_b32_e32 v17, v49, v11, vcc
; %bb.102:                              ;   in Loop: Header=BB4_71 Depth=2
	s_or_b64 exec, exec, s[74:75]
.LBB4_103:                              ;   in Loop: Header=BB4_71 Depth=2
	s_or_b64 exec, exec, s[18:19]
	v_lshrrev_b16_e32 v19, 8, v2
	v_cmp_ne_u16_e32 vcc, 0, v19
	v_mov_b32_e32 v0, 0
	s_and_saveexec_b64 s[18:19], vcc
	s_cbranch_execz .LBB4_111
; %bb.104:                              ;   in Loop: Header=BB4_71 Depth=2
	v_cmp_ne_u16_e32 vcc, s48, v19
	v_bfrev_b32_e32 v0, 1
	s_and_saveexec_b64 s[74:75], vcc
	s_cbranch_execz .LBB4_110
; %bb.105:                              ;   in Loop: Header=BB4_71 Depth=2
	v_and_b32_e32 v0, 0x7c, v19
	v_and_b32_e32 v23, 3, v19
	v_cmp_ne_u32_e32 vcc, s39, v0
                                        ; implicit-def: $vgpr0
	s_and_saveexec_b64 s[76:77], vcc
	s_xor_b64 s[76:77], exec, s[76:77]
	s_cbranch_execz .LBB4_107
; %bb.106:                              ;   in Loop: Header=BB4_71 Depth=2
	v_ffbh_u32_e32 v24, v23
	v_min_u32_e32 v24, 32, v24
	v_mov_b32_e32 v20, v3
	v_subrev_u32_e32 v27, 29, v24
	v_bfe_u32 v0, v19, 2, 5
	v_lshlrev_b64 v[19:20], v27, v[19:20]
	v_sub_u32_e32 v20, 30, v24
	v_cmp_eq_u32_e32 vcc, 0, v0
	v_cndmask_b32_e32 v0, v0, v20, vcc
	v_lshlrev_b32_e32 v20, 16, v2
	v_and_b32_e32 v19, 3, v19
	v_and_b32_e32 v20, 0x80000000, v20
	v_cndmask_b32_e32 v19, v23, v19, vcc
	v_lshl_add_u32 v0, v0, 23, v20
	v_lshl_or_b32 v0, v19, 21, v0
	v_add_u32_e32 v0, 0x38000000, v0
                                        ; implicit-def: $vgpr23
.LBB4_107:                              ;   in Loop: Header=BB4_71 Depth=2
	s_andn2_saveexec_b64 s[76:77], s[76:77]
; %bb.108:                              ;   in Loop: Header=BB4_71 Depth=2
	v_cmp_lt_i16_e32 vcc, -1, v2
	v_cndmask_b32_e32 v0, v8, v54, vcc
	v_cmp_eq_u32_e32 vcc, 0, v23
	v_cndmask_b32_e32 v0, v55, v0, vcc
; %bb.109:                              ;   in Loop: Header=BB4_71 Depth=2
	s_or_b64 exec, exec, s[76:77]
.LBB4_110:                              ;   in Loop: Header=BB4_71 Depth=2
	s_or_b64 exec, exec, s[74:75]
.LBB4_111:                              ;   in Loop: Header=BB4_71 Depth=2
	s_or_b64 exec, exec, s[18:19]
	v_mul_f32_e32 v24, v62, v0
	v_and_b32_e32 v27, 0x7f800000, v24
	v_mov_b32_e32 v28, v3
	v_cmp_ne_u64_e32 vcc, s[56:57], v[27:28]
	v_and_b32_e32 v19, 0x7fffff, v24
	v_mov_b32_e32 v20, v3
                                        ; implicit-def: $vgpr23
	s_and_saveexec_b64 s[18:19], vcc
	s_xor_b64 s[74:75], exec, s[18:19]
	s_cbranch_execz .LBB4_125
; %bb.112:                              ;   in Loop: Header=BB4_71 Depth=2
	v_and_b32_e32 v27, 0x7fffffff, v24
	v_mov_b32_e32 v28, v3
	v_cmp_gt_u64_e32 vcc, s[58:59], v[27:28]
	v_and_b32_sdwa v0, v24, s48 dst_sel:DWORD dst_unused:UNUSED_PAD src0_sel:BYTE_3 src1_sel:DWORD
                                        ; implicit-def: $vgpr23
	s_and_saveexec_b64 s[18:19], vcc
	s_xor_b64 s[76:77], exec, s[18:19]
	s_cbranch_execz .LBB4_122
; %bb.113:                              ;   in Loop: Header=BB4_71 Depth=2
	v_mov_b32_e32 v23, 0
	v_cmp_ne_u32_e32 vcc, 0, v24
	s_and_saveexec_b64 s[78:79], vcc
	s_cbranch_execz .LBB4_121
; %bb.114:                              ;   in Loop: Header=BB4_71 Depth=2
	v_bfe_u32 v23, v24, 23, 8
	v_cmp_gt_u32_e64 s[18:19], s49, v23
	v_sub_u32_e32 v24, 0x71, v23
	v_cmp_eq_u32_e32 vcc, 0, v23
	v_cndmask_b32_e64 v24, 0, v24, s[18:19]
	v_or_b32_e32 v27, 0x800000, v19
	v_cndmask_b32_e32 v24, v24, v12, vcc
	v_cndmask_b32_e32 v19, v27, v19, vcc
	v_add_u32_e32 v27, 21, v24
	v_lshlrev_b64 v[27:28], v27, -1
	v_add_u32_e32 v31, 20, v24
	v_bfi_b32 v27, v27, 0, v19
	v_lshlrev_b64 v[36:37], v31, 1
	v_lshrrev_b64 v[19:20], v24, v[19:20]
	v_bfi_b32 v28, v28, 0, 0
	v_cmp_eq_u64_e64 s[18:19], v[27:28], v[36:37]
	v_mov_b32_e32 v28, v20
	v_mov_b32_e32 v27, v19
	s_and_saveexec_b64 s[88:89], s[18:19]
; %bb.115:                              ;   in Loop: Header=BB4_71 Depth=2
	v_bfe_u32 v20, v19, 21, 1
	v_add_co_u32_e64 v20, s[18:19], v19, v20
	v_add_co_u32_e64 v27, s[18:19], -1, v20
; %bb.116:                              ;   in Loop: Header=BB4_71 Depth=2
	s_or_b64 exec, exec, s[88:89]
	v_add_u32_e32 v20, 0xffffff81, v23
	v_cndmask_b32_e32 v20, v20, v48, vcc
	v_lshrrev_b32_e32 v23, 23, v19
	v_add3_u32 v28, v24, v20, v23
	v_add_u32_e32 v24, 14, v28
	v_and_b32_e32 v20, 0x1fffff, v27
	v_add_u32_e32 v19, v20, v19
	v_mov_b32_e32 v20, v3
	v_cmp_ne_u32_e32 vcc, 0, v24
                                        ; implicit-def: $vgpr23
	s_and_saveexec_b64 s[18:19], vcc
	s_xor_b64 s[18:19], exec, s[18:19]
; %bb.117:                              ;   in Loop: Header=BB4_71 Depth=2
	v_cmp_lt_u64_e32 vcc, s[60:61], v[19:20]
	v_add_u32_e32 v23, 15, v28
	v_cndmask_b32_e32 v23, v24, v23, vcc
	v_cndmask_b32_e64 v24, 0, 1, vcc
	v_lshrrev_b64 v[19:20], v24, v[19:20]
; %bb.118:                              ;   in Loop: Header=BB4_71 Depth=2
	s_andn2_saveexec_b64 s[18:19], s[18:19]
; %bb.119:                              ;   in Loop: Header=BB4_71 Depth=2
	v_bfe_u32 v23, v19, 23, 1
; %bb.120:                              ;   in Loop: Header=BB4_71 Depth=2
	s_or_b64 exec, exec, s[18:19]
	v_lshrrev_b64 v[19:20], 21, v[19:20]
	v_cmp_gt_i32_e32 vcc, 32, v23
	v_cndmask_b32_e32 v20, 0, v20, vcc
	v_cndmask_b32_e32 v19, 3, v19, vcc
	v_cmp_eq_u64_e64 s[18:19], 0, v[19:20]
	v_min_i32_e32 v20, 31, v23
	v_lshlrev_b32_e32 v20, 2, v20
	v_cmp_eq_u32_e32 vcc, 0, v23
	v_and_b32_e32 v20, 0xfc, v20
	v_and_or_b32 v19, v19, 3, v20
	s_and_b64 s[18:19], vcc, s[18:19]
	v_cndmask_b32_e64 v19, v19, 0, s[18:19]
	v_or_b32_e32 v23, v19, v0
.LBB4_121:                              ;   in Loop: Header=BB4_71 Depth=2
	s_or_b64 exec, exec, s[78:79]
                                        ; implicit-def: $vgpr0
.LBB4_122:                              ;   in Loop: Header=BB4_71 Depth=2
	s_andn2_saveexec_b64 s[18:19], s[76:77]
; %bb.123:                              ;   in Loop: Header=BB4_71 Depth=2
	v_or_b32_e32 v23, 0x7b, v0
; %bb.124:                              ;   in Loop: Header=BB4_71 Depth=2
	s_or_b64 exec, exec, s[18:19]
                                        ; implicit-def: $vgpr24
                                        ; implicit-def: $vgpr19_vgpr20
.LBB4_125:                              ;   in Loop: Header=BB4_71 Depth=2
	s_andn2_saveexec_b64 s[18:19], s[74:75]
	s_cbranch_execz .LBB4_131
; %bb.126:                              ;   in Loop: Header=BB4_71 Depth=2
	v_cmp_ne_u64_e32 vcc, 0, v[19:20]
                                        ; implicit-def: $vgpr23
	s_and_saveexec_b64 s[74:75], vcc
	s_xor_b64 s[74:75], exec, s[74:75]
; %bb.127:                              ;   in Loop: Header=BB4_71 Depth=2
	v_or_b32_sdwa v23, v24, s50 dst_sel:DWORD dst_unused:UNUSED_PAD src0_sel:BYTE_3 src1_sel:DWORD
                                        ; implicit-def: $vgpr24
; %bb.128:                              ;   in Loop: Header=BB4_71 Depth=2
	s_andn2_saveexec_b64 s[74:75], s[74:75]
; %bb.129:                              ;   in Loop: Header=BB4_71 Depth=2
	v_cmp_lt_i32_e32 vcc, -1, v24
	v_cndmask_b32_e32 v23, v49, v11, vcc
; %bb.130:                              ;   in Loop: Header=BB4_71 Depth=2
	s_or_b64 exec, exec, s[74:75]
.LBB4_131:                              ;   in Loop: Header=BB4_71 Depth=2
	s_or_b64 exec, exec, s[18:19]
	v_and_b32_sdwa v20, v2, s37 dst_sel:DWORD dst_unused:UNUSED_PAD src0_sel:WORD_1 src1_sel:DWORD
	v_lshrrev_b32_e32 v19, 16, v2
	v_cmp_ne_u16_e32 vcc, 0, v20
	v_mov_b32_e32 v0, 0
	s_and_saveexec_b64 s[18:19], vcc
	s_cbranch_execz .LBB4_139
; %bb.132:                              ;   in Loop: Header=BB4_71 Depth=2
	v_cmp_ne_u16_e32 vcc, s48, v20
	v_bfrev_b32_e32 v0, 1
	s_and_saveexec_b64 s[74:75], vcc
	s_cbranch_execz .LBB4_138
; %bb.133:                              ;   in Loop: Header=BB4_71 Depth=2
	v_and_b32_e32 v0, 0x7c0000, v2
	v_bfe_u32 v20, v2, 16, 2
	v_cmp_ne_u32_e32 vcc, s51, v0
                                        ; implicit-def: $vgpr0
	s_and_saveexec_b64 s[76:77], vcc
	s_xor_b64 s[76:77], exec, s[76:77]
	s_cbranch_execz .LBB4_135
; %bb.134:                              ;   in Loop: Header=BB4_71 Depth=2
	v_ffbh_u32_e32 v24, v20
	v_min_u32_e32 v24, 32, v24
	v_lshrrev_b32_e32 v0, 16, v2
	v_subrev_u32_e32 v27, 29, v24
	v_lshlrev_b64 v[27:28], v27, v[0:1]
	v_bfe_u32 v19, v2, 18, 5
	v_sub_u32_e32 v0, 30, v24
	v_and_b32_e32 v24, 3, v27
	v_cmp_eq_u32_e32 vcc, 0, v19
	v_cndmask_b32_e32 v0, v19, v0, vcc
	v_cndmask_b32_e32 v19, v20, v24, vcc
	v_lshlrev_b32_e32 v20, 8, v2
	v_and_b32_e32 v20, 0x80000000, v20
	v_lshl_add_u32 v0, v0, 23, v20
	v_lshl_or_b32 v0, v19, 21, v0
	v_add_u32_e32 v0, 0x38000000, v0
                                        ; implicit-def: $vgpr20
                                        ; implicit-def: $vgpr19
.LBB4_135:                              ;   in Loop: Header=BB4_71 Depth=2
	s_andn2_saveexec_b64 s[76:77], s[76:77]
; %bb.136:                              ;   in Loop: Header=BB4_71 Depth=2
	v_cmp_gt_i16_sdwa vcc, sext(v19), v7 src0_sel:BYTE_0 src1_sel:DWORD
	v_cndmask_b32_e32 v0, v8, v54, vcc
	v_cmp_eq_u32_e32 vcc, 0, v20
	v_cndmask_b32_e32 v0, v55, v0, vcc
; %bb.137:                              ;   in Loop: Header=BB4_71 Depth=2
	s_or_b64 exec, exec, s[76:77]
.LBB4_138:                              ;   in Loop: Header=BB4_71 Depth=2
	s_or_b64 exec, exec, s[74:75]
.LBB4_139:                              ;   in Loop: Header=BB4_71 Depth=2
	s_or_b64 exec, exec, s[18:19]
	v_mul_f32_e32 v27, v62, v0
	v_and_b32_e32 v36, 0x7f800000, v27
	v_mov_b32_e32 v37, v3
	v_cmp_ne_u64_e32 vcc, s[56:57], v[36:37]
	v_and_b32_e32 v19, 0x7fffff, v27
	v_mov_b32_e32 v20, v3
                                        ; implicit-def: $vgpr24
	s_and_saveexec_b64 s[18:19], vcc
	s_xor_b64 s[74:75], exec, s[18:19]
	s_cbranch_execz .LBB4_153
; %bb.140:                              ;   in Loop: Header=BB4_71 Depth=2
	v_and_b32_e32 v36, 0x7fffffff, v27
	v_mov_b32_e32 v37, v3
	v_cmp_gt_u64_e32 vcc, s[58:59], v[36:37]
	v_and_b32_sdwa v0, v27, s48 dst_sel:DWORD dst_unused:UNUSED_PAD src0_sel:BYTE_3 src1_sel:DWORD
                                        ; implicit-def: $vgpr24
	s_and_saveexec_b64 s[18:19], vcc
	s_xor_b64 s[76:77], exec, s[18:19]
	s_cbranch_execz .LBB4_150
; %bb.141:                              ;   in Loop: Header=BB4_71 Depth=2
	v_mov_b32_e32 v24, 0
	v_cmp_ne_u32_e32 vcc, 0, v27
	s_and_saveexec_b64 s[78:79], vcc
	s_cbranch_execz .LBB4_149
; %bb.142:                              ;   in Loop: Header=BB4_71 Depth=2
	v_bfe_u32 v24, v27, 23, 8
	v_cmp_gt_u32_e64 s[18:19], s49, v24
	v_sub_u32_e32 v27, 0x71, v24
	v_cmp_eq_u32_e32 vcc, 0, v24
	v_cndmask_b32_e64 v27, 0, v27, s[18:19]
	v_cndmask_b32_e32 v31, v27, v12, vcc
	v_or_b32_e32 v28, 0x800000, v19
	v_add_u32_e32 v27, 21, v31
	v_cndmask_b32_e32 v19, v28, v19, vcc
	v_lshlrev_b64 v[27:28], v27, -1
	v_add_u32_e32 v36, 20, v31
	v_bfi_b32 v27, v27, 0, v19
	v_lshlrev_b64 v[36:37], v36, 1
	v_lshrrev_b64 v[19:20], v31, v[19:20]
	v_bfi_b32 v28, v28, 0, 0
	v_cmp_eq_u64_e64 s[18:19], v[27:28], v[36:37]
	v_mov_b32_e32 v28, v20
	v_mov_b32_e32 v27, v19
	s_and_saveexec_b64 s[88:89], s[18:19]
; %bb.143:                              ;   in Loop: Header=BB4_71 Depth=2
	v_bfe_u32 v20, v19, 21, 1
	v_add_co_u32_e64 v20, s[18:19], v19, v20
	v_add_co_u32_e64 v27, s[18:19], -1, v20
; %bb.144:                              ;   in Loop: Header=BB4_71 Depth=2
	s_or_b64 exec, exec, s[88:89]
	v_add_u32_e32 v20, 0xffffff81, v24
	v_cndmask_b32_e32 v20, v20, v48, vcc
	v_lshrrev_b32_e32 v24, 23, v19
	v_add3_u32 v31, v31, v20, v24
	v_add_u32_e32 v28, 14, v31
	v_and_b32_e32 v20, 0x1fffff, v27
	v_add_u32_e32 v19, v20, v19
	v_mov_b32_e32 v20, v3
	v_cmp_ne_u32_e32 vcc, 0, v28
                                        ; implicit-def: $vgpr24
	s_and_saveexec_b64 s[18:19], vcc
	s_xor_b64 s[18:19], exec, s[18:19]
; %bb.145:                              ;   in Loop: Header=BB4_71 Depth=2
	v_cmp_lt_u64_e32 vcc, s[60:61], v[19:20]
	v_add_u32_e32 v24, 15, v31
	v_cndmask_b32_e64 v27, 0, 1, vcc
	v_cndmask_b32_e32 v24, v28, v24, vcc
	v_lshrrev_b64 v[19:20], v27, v[19:20]
; %bb.146:                              ;   in Loop: Header=BB4_71 Depth=2
	s_andn2_saveexec_b64 s[18:19], s[18:19]
; %bb.147:                              ;   in Loop: Header=BB4_71 Depth=2
	v_bfe_u32 v24, v19, 23, 1
; %bb.148:                              ;   in Loop: Header=BB4_71 Depth=2
	s_or_b64 exec, exec, s[18:19]
	v_lshrrev_b64 v[19:20], 21, v[19:20]
	v_cmp_gt_i32_e32 vcc, 32, v24
	v_cndmask_b32_e32 v20, 0, v20, vcc
	v_cndmask_b32_e32 v19, 3, v19, vcc
	v_cmp_eq_u64_e64 s[18:19], 0, v[19:20]
	v_min_i32_e32 v20, 31, v24
	v_lshlrev_b32_e32 v20, 2, v20
	v_cmp_eq_u32_e32 vcc, 0, v24
	v_and_b32_e32 v20, 0xfc, v20
	v_and_or_b32 v19, v19, 3, v20
	s_and_b64 s[18:19], vcc, s[18:19]
	v_cndmask_b32_e64 v19, v19, 0, s[18:19]
	v_or_b32_e32 v24, v19, v0
.LBB4_149:                              ;   in Loop: Header=BB4_71 Depth=2
	s_or_b64 exec, exec, s[78:79]
                                        ; implicit-def: $vgpr0
.LBB4_150:                              ;   in Loop: Header=BB4_71 Depth=2
	s_andn2_saveexec_b64 s[18:19], s[76:77]
; %bb.151:                              ;   in Loop: Header=BB4_71 Depth=2
	v_or_b32_e32 v24, 0x7b, v0
; %bb.152:                              ;   in Loop: Header=BB4_71 Depth=2
	s_or_b64 exec, exec, s[18:19]
                                        ; implicit-def: $vgpr27
                                        ; implicit-def: $vgpr19_vgpr20
.LBB4_153:                              ;   in Loop: Header=BB4_71 Depth=2
	s_andn2_saveexec_b64 s[18:19], s[74:75]
	s_cbranch_execz .LBB4_159
; %bb.154:                              ;   in Loop: Header=BB4_71 Depth=2
	v_cmp_ne_u64_e32 vcc, 0, v[19:20]
                                        ; implicit-def: $vgpr24
	s_and_saveexec_b64 s[74:75], vcc
	s_xor_b64 s[74:75], exec, s[74:75]
; %bb.155:                              ;   in Loop: Header=BB4_71 Depth=2
	v_or_b32_sdwa v24, v27, s50 dst_sel:DWORD dst_unused:UNUSED_PAD src0_sel:BYTE_3 src1_sel:DWORD
                                        ; implicit-def: $vgpr27
; %bb.156:                              ;   in Loop: Header=BB4_71 Depth=2
	s_andn2_saveexec_b64 s[74:75], s[74:75]
; %bb.157:                              ;   in Loop: Header=BB4_71 Depth=2
	v_cmp_lt_i32_e32 vcc, -1, v27
	v_cndmask_b32_e32 v24, v49, v11, vcc
; %bb.158:                              ;   in Loop: Header=BB4_71 Depth=2
	s_or_b64 exec, exec, s[74:75]
.LBB4_159:                              ;   in Loop: Header=BB4_71 Depth=2
	s_or_b64 exec, exec, s[18:19]
	v_cmp_lt_u32_e32 vcc, s47, v2
	v_mov_b32_e32 v19, 0
	s_and_saveexec_b64 s[18:19], vcc
	s_cbranch_execz .LBB4_167
; %bb.160:                              ;   in Loop: Header=BB4_71 Depth=2
	v_lshrrev_b32_e32 v0, 24, v2
	v_cmp_ne_u32_e32 vcc, s48, v0
	v_bfrev_b32_e32 v19, 1
	s_and_saveexec_b64 s[74:75], vcc
	s_cbranch_execz .LBB4_166
; %bb.161:                              ;   in Loop: Header=BB4_71 Depth=2
	v_and_b32_e32 v19, 0x7c000000, v2
	v_bfe_u32 v20, v2, 24, 2
	v_cmp_ne_u32_e32 vcc, s52, v19
                                        ; implicit-def: $vgpr19
	s_and_saveexec_b64 s[76:77], vcc
	s_xor_b64 s[76:77], exec, s[76:77]
	s_cbranch_execz .LBB4_163
; %bb.162:                              ;   in Loop: Header=BB4_71 Depth=2
	v_ffbh_u32_e32 v27, v20
	v_min_u32_e32 v31, 32, v27
	v_subrev_u32_e32 v27, 29, v31
	v_bfe_u32 v19, v2, 26, 5
	v_lshlrev_b64 v[27:28], v27, v[0:1]
	v_sub_u32_e32 v0, 30, v31
	v_cmp_eq_u32_e32 vcc, 0, v19
	v_and_b32_e32 v27, 3, v27
	v_cndmask_b32_e32 v0, v19, v0, vcc
	v_and_b32_e32 v2, 0x80000000, v2
	v_cndmask_b32_e32 v19, v20, v27, vcc
	v_lshl_add_u32 v0, v0, 23, v2
	v_lshl_or_b32 v0, v19, 21, v0
	v_add_u32_e32 v19, 0x38000000, v0
                                        ; implicit-def: $vgpr20
.LBB4_163:                              ;   in Loop: Header=BB4_71 Depth=2
	s_andn2_saveexec_b64 s[76:77], s[76:77]
; %bb.164:                              ;   in Loop: Header=BB4_71 Depth=2
	v_cmp_lt_i32_e32 vcc, -1, v2
	v_cndmask_b32_e32 v0, v8, v54, vcc
	v_cmp_eq_u32_e32 vcc, 0, v20
	v_cndmask_b32_e32 v19, v55, v0, vcc
; %bb.165:                              ;   in Loop: Header=BB4_71 Depth=2
	s_or_b64 exec, exec, s[76:77]
.LBB4_166:                              ;   in Loop: Header=BB4_71 Depth=2
	s_or_b64 exec, exec, s[74:75]
.LBB4_167:                              ;   in Loop: Header=BB4_71 Depth=2
	s_or_b64 exec, exec, s[18:19]
	v_mul_f32_e32 v19, v62, v19
	v_and_b32_e32 v27, 0x7f800000, v19
	v_mov_b32_e32 v28, v3
	v_cmp_ne_u64_e32 vcc, s[56:57], v[27:28]
	v_and_b32_e32 v2, 0x7fffff, v19
                                        ; implicit-def: $vgpr31
	s_and_saveexec_b64 s[18:19], vcc
	s_xor_b64 s[74:75], exec, s[18:19]
	s_cbranch_execz .LBB4_181
; %bb.168:                              ;   in Loop: Header=BB4_71 Depth=2
	v_and_b32_e32 v27, 0x7fffffff, v19
	v_mov_b32_e32 v28, v3
	v_cmp_gt_u64_e32 vcc, s[58:59], v[27:28]
	v_and_b32_sdwa v0, v19, s48 dst_sel:DWORD dst_unused:UNUSED_PAD src0_sel:BYTE_3 src1_sel:DWORD
                                        ; implicit-def: $vgpr31
	s_and_saveexec_b64 s[18:19], vcc
	s_xor_b64 s[76:77], exec, s[18:19]
	s_cbranch_execz .LBB4_178
; %bb.169:                              ;   in Loop: Header=BB4_71 Depth=2
	v_mov_b32_e32 v31, 0
	v_cmp_ne_u32_e32 vcc, 0, v19
	s_and_saveexec_b64 s[78:79], vcc
	s_cbranch_execz .LBB4_177
; %bb.170:                              ;   in Loop: Header=BB4_71 Depth=2
	v_bfe_u32 v31, v19, 23, 8
	v_cmp_gt_u32_e64 s[18:19], s49, v31
	v_sub_u32_e32 v19, 0x71, v31
	v_cmp_eq_u32_e32 vcc, 0, v31
	v_cndmask_b32_e64 v19, 0, v19, s[18:19]
	v_cndmask_b32_e32 v36, v19, v12, vcc
	v_or_b32_e32 v20, 0x800000, v2
	v_add_u32_e32 v19, 21, v36
	v_cndmask_b32_e32 v2, v20, v2, vcc
	v_lshlrev_b64 v[19:20], v19, -1
	v_add_u32_e32 v27, 20, v36
	v_lshlrev_b64 v[27:28], v27, 1
	v_bfi_b32 v20, v20, 0, 0
	v_bfi_b32 v19, v19, 0, v2
	v_cmp_eq_u64_e64 s[18:19], v[19:20], v[27:28]
	v_lshrrev_b64 v[19:20], v36, v[2:3]
	v_mov_b32_e32 v28, v20
	v_mov_b32_e32 v27, v19
	s_and_saveexec_b64 s[88:89], s[18:19]
; %bb.171:                              ;   in Loop: Header=BB4_71 Depth=2
	v_bfe_u32 v2, v19, 21, 1
	v_add_co_u32_e64 v2, s[18:19], v19, v2
	v_add_co_u32_e64 v27, s[18:19], -1, v2
; %bb.172:                              ;   in Loop: Header=BB4_71 Depth=2
	s_or_b64 exec, exec, s[88:89]
	v_add_u32_e32 v2, 0xffffff81, v31
	v_cndmask_b32_e32 v2, v2, v48, vcc
	v_lshrrev_b32_e32 v20, 23, v19
	v_add3_u32 v31, v36, v2, v20
	v_add_u32_e32 v28, 14, v31
	v_and_b32_e32 v2, 0x1fffff, v27
	v_add_u32_e32 v2, v2, v19
	v_cmp_ne_u32_e32 vcc, 0, v28
                                        ; implicit-def: $vgpr19_vgpr20
                                        ; implicit-def: $vgpr27
	s_and_saveexec_b64 s[18:19], vcc
	s_xor_b64 s[18:19], exec, s[18:19]
; %bb.173:                              ;   in Loop: Header=BB4_71 Depth=2
	v_cmp_lt_u64_e32 vcc, s[60:61], v[2:3]
	v_add_u32_e32 v19, 15, v31
	v_cndmask_b32_e32 v27, v28, v19, vcc
	v_cndmask_b32_e64 v19, 0, 1, vcc
	v_lshrrev_b64 v[19:20], v19, v[2:3]
; %bb.174:                              ;   in Loop: Header=BB4_71 Depth=2
	s_andn2_saveexec_b64 s[18:19], s[18:19]
; %bb.175:                              ;   in Loop: Header=BB4_71 Depth=2
	v_mov_b32_e32 v20, v3
	v_bfe_u32 v27, v2, 23, 1
	v_mov_b32_e32 v19, v2
; %bb.176:                              ;   in Loop: Header=BB4_71 Depth=2
	s_or_b64 exec, exec, s[18:19]
	v_lshrrev_b64 v[19:20], 21, v[19:20]
	v_cmp_gt_i32_e32 vcc, 32, v27
	v_cndmask_b32_e32 v20, 0, v20, vcc
	v_cndmask_b32_e32 v19, 3, v19, vcc
	v_min_i32_e32 v2, 31, v27
	v_cmp_eq_u64_e64 s[18:19], 0, v[19:20]
	v_lshlrev_b32_e32 v2, 2, v2
	v_cmp_eq_u32_e32 vcc, 0, v27
	v_and_b32_e32 v2, 0xfc, v2
	v_and_or_b32 v2, v19, 3, v2
	s_and_b64 s[18:19], vcc, s[18:19]
	v_cndmask_b32_e64 v2, v2, 0, s[18:19]
	v_or_b32_e32 v31, v2, v0
.LBB4_177:                              ;   in Loop: Header=BB4_71 Depth=2
	s_or_b64 exec, exec, s[78:79]
                                        ; implicit-def: $vgpr0
.LBB4_178:                              ;   in Loop: Header=BB4_71 Depth=2
	s_andn2_saveexec_b64 s[18:19], s[76:77]
; %bb.179:                              ;   in Loop: Header=BB4_71 Depth=2
	v_or_b32_e32 v31, 0x7b, v0
; %bb.180:                              ;   in Loop: Header=BB4_71 Depth=2
	s_or_b64 exec, exec, s[18:19]
                                        ; implicit-def: $vgpr19
.LBB4_181:                              ;   in Loop: Header=BB4_71 Depth=2
	s_andn2_saveexec_b64 s[18:19], s[74:75]
	s_cbranch_execz .LBB4_187
; %bb.182:                              ;   in Loop: Header=BB4_71 Depth=2
	v_cmp_ne_u64_e32 vcc, 0, v[2:3]
                                        ; implicit-def: $vgpr31
	s_and_saveexec_b64 s[74:75], vcc
	s_xor_b64 s[74:75], exec, s[74:75]
; %bb.183:                              ;   in Loop: Header=BB4_71 Depth=2
	v_or_b32_sdwa v31, v19, s50 dst_sel:DWORD dst_unused:UNUSED_PAD src0_sel:BYTE_3 src1_sel:DWORD
                                        ; implicit-def: $vgpr19
; %bb.184:                              ;   in Loop: Header=BB4_71 Depth=2
	s_andn2_saveexec_b64 s[74:75], s[74:75]
; %bb.185:                              ;   in Loop: Header=BB4_71 Depth=2
	v_cmp_lt_i32_e32 vcc, -1, v19
	v_cndmask_b32_e32 v31, v49, v11, vcc
; %bb.186:                              ;   in Loop: Header=BB4_71 Depth=2
	s_or_b64 exec, exec, s[74:75]
.LBB4_187:                              ;   in Loop: Header=BB4_71 Depth=2
	s_or_b64 exec, exec, s[18:19]
	v_alignbit_b32 v2, v32, v33, v26
	v_cmp_ne_u16_sdwa s[74:75], v2, v3 src0_sel:BYTE_0 src1_sel:DWORD
	v_mov_b32_e32 v0, 0
	s_and_saveexec_b64 s[18:19], s[74:75]
	s_cbranch_execz .LBB4_195
; %bb.188:                              ;   in Loop: Header=BB4_71 Depth=2
	v_cmp_ne_u16_sdwa s[76:77], sext(v2), s38 src0_sel:BYTE_0 src1_sel:DWORD
	v_bfrev_b32_e32 v0, 1
	s_and_saveexec_b64 s[74:75], s[76:77]
	s_cbranch_execz .LBB4_194
; %bb.189:                              ;   in Loop: Header=BB4_71 Depth=2
	v_and_b32_e32 v0, 0x7c, v2
	v_and_b32_e32 v19, 3, v2
	v_cmp_ne_u32_e32 vcc, s39, v0
                                        ; implicit-def: $vgpr0
	s_and_saveexec_b64 s[76:77], vcc
	s_xor_b64 s[76:77], exec, s[76:77]
	s_cbranch_execz .LBB4_191
; %bb.190:                              ;   in Loop: Header=BB4_71 Depth=2
	v_ffbh_u32_e32 v20, v19
	v_min_u32_e32 v20, 32, v20
	v_bfe_u32 v0, v2, 2, 5
	v_subrev_u32_e32 v27, 29, v20
	v_lshlrev_b64 v[27:28], v27, v[2:3]
	v_sub_u32_e32 v20, 30, v20
	v_cmp_eq_u32_e32 vcc, 0, v0
	v_cndmask_b32_e32 v0, v0, v20, vcc
	v_lshlrev_b32_e32 v20, 24, v2
	v_and_b32_e32 v27, 3, v27
	v_and_b32_e32 v20, 0x80000000, v20
	v_cndmask_b32_e32 v19, v19, v27, vcc
	v_lshl_add_u32 v0, v0, 23, v20
	v_lshl_or_b32 v0, v19, 21, v0
	v_add_u32_e32 v0, 0x38000000, v0
                                        ; implicit-def: $vgpr19
.LBB4_191:                              ;   in Loop: Header=BB4_71 Depth=2
	s_andn2_saveexec_b64 s[76:77], s[76:77]
; %bb.192:                              ;   in Loop: Header=BB4_71 Depth=2
	v_cmp_gt_i16_sdwa vcc, sext(v2), v7 src0_sel:BYTE_0 src1_sel:DWORD
	v_cndmask_b32_e32 v0, v8, v54, vcc
	v_cmp_eq_u32_e32 vcc, 0, v19
	v_cndmask_b32_e32 v0, v55, v0, vcc
; %bb.193:                              ;   in Loop: Header=BB4_71 Depth=2
	s_or_b64 exec, exec, s[76:77]
.LBB4_194:                              ;   in Loop: Header=BB4_71 Depth=2
	s_or_b64 exec, exec, s[74:75]
.LBB4_195:                              ;   in Loop: Header=BB4_71 Depth=2
	s_or_b64 exec, exec, s[18:19]
	v_mul_f32_e32 v27, v62, v0
	v_and_b32_e32 v32, 0x7f800000, v27
	v_mov_b32_e32 v33, v3
	v_cmp_ne_u64_e32 vcc, s[56:57], v[32:33]
	v_and_b32_e32 v19, 0x7fffff, v27
	v_mov_b32_e32 v20, v3
                                        ; implicit-def: $vgpr32
	s_and_saveexec_b64 s[18:19], vcc
	s_xor_b64 s[74:75], exec, s[18:19]
	s_cbranch_execz .LBB4_209
; %bb.196:                              ;   in Loop: Header=BB4_71 Depth=2
	v_and_b32_e32 v32, 0x7fffffff, v27
	v_mov_b32_e32 v33, v3
	v_cmp_gt_u64_e32 vcc, s[58:59], v[32:33]
	v_and_b32_sdwa v0, v27, s48 dst_sel:DWORD dst_unused:UNUSED_PAD src0_sel:BYTE_3 src1_sel:DWORD
                                        ; implicit-def: $vgpr32
	s_and_saveexec_b64 s[18:19], vcc
	s_xor_b64 s[76:77], exec, s[18:19]
	s_cbranch_execz .LBB4_206
; %bb.197:                              ;   in Loop: Header=BB4_71 Depth=2
	v_mov_b32_e32 v32, 0
	v_cmp_ne_u32_e32 vcc, 0, v27
	s_and_saveexec_b64 s[78:79], vcc
	s_cbranch_execz .LBB4_205
; %bb.198:                              ;   in Loop: Header=BB4_71 Depth=2
	v_bfe_u32 v32, v27, 23, 8
	v_cmp_gt_u32_e64 s[18:19], s49, v32
	v_sub_u32_e32 v27, 0x71, v32
	v_cmp_eq_u32_e32 vcc, 0, v32
	v_cndmask_b32_e64 v27, 0, v27, s[18:19]
	v_cndmask_b32_e32 v33, v27, v12, vcc
	v_or_b32_e32 v28, 0x800000, v19
	v_add_u32_e32 v27, 21, v33
	v_cndmask_b32_e32 v19, v28, v19, vcc
	v_lshlrev_b64 v[27:28], v27, -1
	v_add_u32_e32 v36, 20, v33
	v_bfi_b32 v27, v27, 0, v19
	v_lshlrev_b64 v[36:37], v36, 1
	v_lshrrev_b64 v[19:20], v33, v[19:20]
	v_bfi_b32 v28, v28, 0, 0
	v_cmp_eq_u64_e64 s[18:19], v[27:28], v[36:37]
	v_mov_b32_e32 v28, v20
	v_mov_b32_e32 v27, v19
	s_and_saveexec_b64 s[88:89], s[18:19]
; %bb.199:                              ;   in Loop: Header=BB4_71 Depth=2
	v_bfe_u32 v20, v19, 21, 1
	v_add_co_u32_e64 v20, s[18:19], v19, v20
	v_add_co_u32_e64 v27, s[18:19], -1, v20
; %bb.200:                              ;   in Loop: Header=BB4_71 Depth=2
	s_or_b64 exec, exec, s[88:89]
	v_add_u32_e32 v20, 0xffffff81, v32
	v_cndmask_b32_e32 v20, v20, v48, vcc
	v_lshrrev_b32_e32 v28, 23, v19
	v_add3_u32 v32, v33, v20, v28
	v_add_u32_e32 v28, 14, v32
	v_and_b32_e32 v20, 0x1fffff, v27
	v_add_u32_e32 v19, v20, v19
	v_mov_b32_e32 v20, v3
	v_cmp_ne_u32_e32 vcc, 0, v28
                                        ; implicit-def: $vgpr27
	s_and_saveexec_b64 s[18:19], vcc
	s_xor_b64 s[18:19], exec, s[18:19]
; %bb.201:                              ;   in Loop: Header=BB4_71 Depth=2
	v_cmp_lt_u64_e32 vcc, s[60:61], v[19:20]
	v_add_u32_e32 v27, 15, v32
	v_cndmask_b32_e32 v27, v28, v27, vcc
	v_cndmask_b32_e64 v28, 0, 1, vcc
	v_lshrrev_b64 v[19:20], v28, v[19:20]
; %bb.202:                              ;   in Loop: Header=BB4_71 Depth=2
	s_andn2_saveexec_b64 s[18:19], s[18:19]
; %bb.203:                              ;   in Loop: Header=BB4_71 Depth=2
	v_bfe_u32 v27, v19, 23, 1
; %bb.204:                              ;   in Loop: Header=BB4_71 Depth=2
	s_or_b64 exec, exec, s[18:19]
	v_lshrrev_b64 v[19:20], 21, v[19:20]
	v_cmp_gt_i32_e32 vcc, 32, v27
	v_cndmask_b32_e32 v20, 0, v20, vcc
	v_cndmask_b32_e32 v19, 3, v19, vcc
	v_cmp_eq_u64_e64 s[18:19], 0, v[19:20]
	v_min_i32_e32 v20, 31, v27
	v_lshlrev_b32_e32 v20, 2, v20
	v_cmp_eq_u32_e32 vcc, 0, v27
	v_and_b32_e32 v20, 0xfc, v20
	v_and_or_b32 v19, v19, 3, v20
	s_and_b64 s[18:19], vcc, s[18:19]
	v_cndmask_b32_e64 v19, v19, 0, s[18:19]
	v_or_b32_e32 v32, v19, v0
.LBB4_205:                              ;   in Loop: Header=BB4_71 Depth=2
	s_or_b64 exec, exec, s[78:79]
                                        ; implicit-def: $vgpr0
.LBB4_206:                              ;   in Loop: Header=BB4_71 Depth=2
	s_andn2_saveexec_b64 s[18:19], s[76:77]
; %bb.207:                              ;   in Loop: Header=BB4_71 Depth=2
	v_or_b32_e32 v32, 0x7b, v0
; %bb.208:                              ;   in Loop: Header=BB4_71 Depth=2
	s_or_b64 exec, exec, s[18:19]
                                        ; implicit-def: $vgpr27
                                        ; implicit-def: $vgpr19_vgpr20
.LBB4_209:                              ;   in Loop: Header=BB4_71 Depth=2
	s_andn2_saveexec_b64 s[18:19], s[74:75]
	s_cbranch_execz .LBB4_215
; %bb.210:                              ;   in Loop: Header=BB4_71 Depth=2
	v_cmp_ne_u64_e32 vcc, 0, v[19:20]
                                        ; implicit-def: $vgpr32
	s_and_saveexec_b64 s[74:75], vcc
	s_xor_b64 s[74:75], exec, s[74:75]
; %bb.211:                              ;   in Loop: Header=BB4_71 Depth=2
	v_or_b32_sdwa v32, v27, s50 dst_sel:DWORD dst_unused:UNUSED_PAD src0_sel:BYTE_3 src1_sel:DWORD
                                        ; implicit-def: $vgpr27
; %bb.212:                              ;   in Loop: Header=BB4_71 Depth=2
	s_andn2_saveexec_b64 s[74:75], s[74:75]
; %bb.213:                              ;   in Loop: Header=BB4_71 Depth=2
	v_cmp_lt_i32_e32 vcc, -1, v27
	v_cndmask_b32_e32 v32, v49, v11, vcc
; %bb.214:                              ;   in Loop: Header=BB4_71 Depth=2
	s_or_b64 exec, exec, s[74:75]
.LBB4_215:                              ;   in Loop: Header=BB4_71 Depth=2
	s_or_b64 exec, exec, s[18:19]
	v_lshrrev_b16_e32 v19, 8, v2
	v_cmp_ne_u16_e32 vcc, 0, v19
	v_mov_b32_e32 v0, 0
	s_and_saveexec_b64 s[18:19], vcc
	s_cbranch_execz .LBB4_223
; %bb.216:                              ;   in Loop: Header=BB4_71 Depth=2
	v_cmp_ne_u16_e32 vcc, s48, v19
	v_bfrev_b32_e32 v0, 1
	s_and_saveexec_b64 s[74:75], vcc
	s_cbranch_execz .LBB4_222
; %bb.217:                              ;   in Loop: Header=BB4_71 Depth=2
	v_and_b32_e32 v0, 0x7c, v19
	v_and_b32_e32 v27, 3, v19
	v_cmp_ne_u32_e32 vcc, s39, v0
                                        ; implicit-def: $vgpr0
	s_and_saveexec_b64 s[76:77], vcc
	s_xor_b64 s[76:77], exec, s[76:77]
	s_cbranch_execz .LBB4_219
; %bb.218:                              ;   in Loop: Header=BB4_71 Depth=2
	v_ffbh_u32_e32 v28, v27
	v_min_u32_e32 v28, 32, v28
	v_mov_b32_e32 v20, v3
	v_subrev_u32_e32 v33, 29, v28
	v_bfe_u32 v0, v19, 2, 5
	v_lshlrev_b64 v[19:20], v33, v[19:20]
	v_sub_u32_e32 v20, 30, v28
	v_cmp_eq_u32_e32 vcc, 0, v0
	v_cndmask_b32_e32 v0, v0, v20, vcc
	v_lshlrev_b32_e32 v20, 16, v2
	v_and_b32_e32 v19, 3, v19
	v_and_b32_e32 v20, 0x80000000, v20
	v_cndmask_b32_e32 v19, v27, v19, vcc
	v_lshl_add_u32 v0, v0, 23, v20
	v_lshl_or_b32 v0, v19, 21, v0
	v_add_u32_e32 v0, 0x38000000, v0
                                        ; implicit-def: $vgpr27
.LBB4_219:                              ;   in Loop: Header=BB4_71 Depth=2
	s_andn2_saveexec_b64 s[76:77], s[76:77]
; %bb.220:                              ;   in Loop: Header=BB4_71 Depth=2
	v_cmp_lt_i16_e32 vcc, -1, v2
	v_cndmask_b32_e32 v0, v8, v54, vcc
	v_cmp_eq_u32_e32 vcc, 0, v27
	v_cndmask_b32_e32 v0, v55, v0, vcc
; %bb.221:                              ;   in Loop: Header=BB4_71 Depth=2
	s_or_b64 exec, exec, s[76:77]
.LBB4_222:                              ;   in Loop: Header=BB4_71 Depth=2
	s_or_b64 exec, exec, s[74:75]
.LBB4_223:                              ;   in Loop: Header=BB4_71 Depth=2
	s_or_b64 exec, exec, s[18:19]
	v_mul_f32_e32 v27, v62, v0
	v_and_b32_e32 v36, 0x7f800000, v27
	v_mov_b32_e32 v37, v3
	v_cmp_ne_u64_e32 vcc, s[56:57], v[36:37]
	v_and_b32_e32 v19, 0x7fffff, v27
	v_mov_b32_e32 v20, v3
                                        ; implicit-def: $vgpr33
	s_and_saveexec_b64 s[18:19], vcc
	s_xor_b64 s[74:75], exec, s[18:19]
	s_cbranch_execz .LBB4_237
; %bb.224:                              ;   in Loop: Header=BB4_71 Depth=2
	v_and_b32_e32 v36, 0x7fffffff, v27
	v_mov_b32_e32 v37, v3
	v_cmp_gt_u64_e32 vcc, s[58:59], v[36:37]
	v_and_b32_sdwa v0, v27, s48 dst_sel:DWORD dst_unused:UNUSED_PAD src0_sel:BYTE_3 src1_sel:DWORD
                                        ; implicit-def: $vgpr33
	s_and_saveexec_b64 s[18:19], vcc
	s_xor_b64 s[76:77], exec, s[18:19]
	s_cbranch_execz .LBB4_234
; %bb.225:                              ;   in Loop: Header=BB4_71 Depth=2
	v_mov_b32_e32 v33, 0
	v_cmp_ne_u32_e32 vcc, 0, v27
	s_and_saveexec_b64 s[78:79], vcc
	s_cbranch_execz .LBB4_233
; %bb.226:                              ;   in Loop: Header=BB4_71 Depth=2
	v_bfe_u32 v33, v27, 23, 8
	v_cmp_gt_u32_e64 s[18:19], s49, v33
	v_sub_u32_e32 v27, 0x71, v33
	v_cmp_eq_u32_e32 vcc, 0, v33
	v_cndmask_b32_e64 v27, 0, v27, s[18:19]
	v_cndmask_b32_e32 v36, v27, v12, vcc
	v_or_b32_e32 v28, 0x800000, v19
	v_add_u32_e32 v27, 21, v36
	v_cndmask_b32_e32 v19, v28, v19, vcc
	v_lshlrev_b64 v[27:28], v27, -1
	v_add_u32_e32 v37, 20, v36
	v_bfi_b32 v27, v27, 0, v19
	v_lshlrev_b64 v[37:38], v37, 1
	v_lshrrev_b64 v[19:20], v36, v[19:20]
	v_bfi_b32 v28, v28, 0, 0
	v_cmp_eq_u64_e64 s[18:19], v[27:28], v[37:38]
	v_mov_b32_e32 v28, v20
	v_mov_b32_e32 v27, v19
	s_and_saveexec_b64 s[88:89], s[18:19]
; %bb.227:                              ;   in Loop: Header=BB4_71 Depth=2
	v_bfe_u32 v20, v19, 21, 1
	v_add_co_u32_e64 v20, s[18:19], v19, v20
	v_add_co_u32_e64 v27, s[18:19], -1, v20
; %bb.228:                              ;   in Loop: Header=BB4_71 Depth=2
	s_or_b64 exec, exec, s[88:89]
	v_add_u32_e32 v20, 0xffffff81, v33
	v_cndmask_b32_e32 v20, v20, v48, vcc
	v_lshrrev_b32_e32 v28, 23, v19
	v_add3_u32 v33, v36, v20, v28
	v_add_u32_e32 v28, 14, v33
	v_and_b32_e32 v20, 0x1fffff, v27
	v_add_u32_e32 v19, v20, v19
	v_mov_b32_e32 v20, v3
	v_cmp_ne_u32_e32 vcc, 0, v28
                                        ; implicit-def: $vgpr27
	s_and_saveexec_b64 s[18:19], vcc
	s_xor_b64 s[18:19], exec, s[18:19]
; %bb.229:                              ;   in Loop: Header=BB4_71 Depth=2
	v_cmp_lt_u64_e32 vcc, s[60:61], v[19:20]
	v_add_u32_e32 v27, 15, v33
	v_cndmask_b32_e32 v27, v28, v27, vcc
	v_cndmask_b32_e64 v28, 0, 1, vcc
	v_lshrrev_b64 v[19:20], v28, v[19:20]
; %bb.230:                              ;   in Loop: Header=BB4_71 Depth=2
	s_andn2_saveexec_b64 s[18:19], s[18:19]
; %bb.231:                              ;   in Loop: Header=BB4_71 Depth=2
	v_bfe_u32 v27, v19, 23, 1
; %bb.232:                              ;   in Loop: Header=BB4_71 Depth=2
	s_or_b64 exec, exec, s[18:19]
	v_lshrrev_b64 v[19:20], 21, v[19:20]
	v_cmp_gt_i32_e32 vcc, 32, v27
	v_cndmask_b32_e32 v20, 0, v20, vcc
	v_cndmask_b32_e32 v19, 3, v19, vcc
	v_cmp_eq_u64_e64 s[18:19], 0, v[19:20]
	v_min_i32_e32 v20, 31, v27
	v_lshlrev_b32_e32 v20, 2, v20
	v_cmp_eq_u32_e32 vcc, 0, v27
	v_and_b32_e32 v20, 0xfc, v20
	v_and_or_b32 v19, v19, 3, v20
	s_and_b64 s[18:19], vcc, s[18:19]
	v_cndmask_b32_e64 v19, v19, 0, s[18:19]
	v_or_b32_e32 v33, v19, v0
.LBB4_233:                              ;   in Loop: Header=BB4_71 Depth=2
	s_or_b64 exec, exec, s[78:79]
                                        ; implicit-def: $vgpr0
.LBB4_234:                              ;   in Loop: Header=BB4_71 Depth=2
	s_andn2_saveexec_b64 s[18:19], s[76:77]
; %bb.235:                              ;   in Loop: Header=BB4_71 Depth=2
	v_or_b32_e32 v33, 0x7b, v0
; %bb.236:                              ;   in Loop: Header=BB4_71 Depth=2
	s_or_b64 exec, exec, s[18:19]
                                        ; implicit-def: $vgpr27
                                        ; implicit-def: $vgpr19_vgpr20
.LBB4_237:                              ;   in Loop: Header=BB4_71 Depth=2
	s_andn2_saveexec_b64 s[18:19], s[74:75]
	s_cbranch_execz .LBB4_243
; %bb.238:                              ;   in Loop: Header=BB4_71 Depth=2
	v_cmp_ne_u64_e32 vcc, 0, v[19:20]
                                        ; implicit-def: $vgpr33
	s_and_saveexec_b64 s[74:75], vcc
	s_xor_b64 s[74:75], exec, s[74:75]
; %bb.239:                              ;   in Loop: Header=BB4_71 Depth=2
	v_or_b32_sdwa v33, v27, s50 dst_sel:DWORD dst_unused:UNUSED_PAD src0_sel:BYTE_3 src1_sel:DWORD
                                        ; implicit-def: $vgpr27
; %bb.240:                              ;   in Loop: Header=BB4_71 Depth=2
	s_andn2_saveexec_b64 s[74:75], s[74:75]
; %bb.241:                              ;   in Loop: Header=BB4_71 Depth=2
	v_cmp_lt_i32_e32 vcc, -1, v27
	v_cndmask_b32_e32 v33, v49, v11, vcc
; %bb.242:                              ;   in Loop: Header=BB4_71 Depth=2
	s_or_b64 exec, exec, s[74:75]
.LBB4_243:                              ;   in Loop: Header=BB4_71 Depth=2
	s_or_b64 exec, exec, s[18:19]
	v_and_b32_sdwa v20, v2, s37 dst_sel:DWORD dst_unused:UNUSED_PAD src0_sel:WORD_1 src1_sel:DWORD
	v_lshrrev_b32_e32 v0, 16, v2
	v_cmp_ne_u16_e32 vcc, 0, v20
	v_mov_b32_e32 v19, 0
	s_and_saveexec_b64 s[18:19], vcc
	s_cbranch_execz .LBB4_251
; %bb.244:                              ;   in Loop: Header=BB4_71 Depth=2
	v_cmp_ne_u16_e32 vcc, s48, v20
	v_bfrev_b32_e32 v19, 1
	s_and_saveexec_b64 s[74:75], vcc
	s_cbranch_execz .LBB4_250
; %bb.245:                              ;   in Loop: Header=BB4_71 Depth=2
	v_and_b32_e32 v19, 0x7c0000, v2
	v_bfe_u32 v20, v2, 16, 2
	v_cmp_ne_u32_e32 vcc, s51, v19
                                        ; implicit-def: $vgpr19
	s_and_saveexec_b64 s[76:77], vcc
	s_xor_b64 s[76:77], exec, s[76:77]
	s_cbranch_execz .LBB4_247
; %bb.246:                              ;   in Loop: Header=BB4_71 Depth=2
	v_ffbh_u32_e32 v27, v20
	v_min_u32_e32 v36, 32, v27
	v_subrev_u32_e32 v27, 29, v36
	v_lshlrev_b64 v[27:28], v27, v[0:1]
	v_bfe_u32 v19, v2, 18, 5
	v_sub_u32_e32 v0, 30, v36
	v_and_b32_e32 v27, 3, v27
	v_cmp_eq_u32_e32 vcc, 0, v19
	v_cndmask_b32_e32 v0, v19, v0, vcc
	v_cndmask_b32_e32 v19, v20, v27, vcc
	v_lshlrev_b32_e32 v20, 8, v2
	v_and_b32_e32 v20, 0x80000000, v20
	v_lshl_add_u32 v0, v0, 23, v20
	v_lshl_or_b32 v0, v19, 21, v0
	v_add_u32_e32 v19, 0x38000000, v0
                                        ; implicit-def: $vgpr20
                                        ; implicit-def: $vgpr0
.LBB4_247:                              ;   in Loop: Header=BB4_71 Depth=2
	s_andn2_saveexec_b64 s[76:77], s[76:77]
; %bb.248:                              ;   in Loop: Header=BB4_71 Depth=2
	v_cmp_gt_i16_sdwa vcc, sext(v0), v7 src0_sel:BYTE_0 src1_sel:DWORD
	v_cndmask_b32_e32 v0, v8, v54, vcc
	v_cmp_eq_u32_e32 vcc, 0, v20
	v_cndmask_b32_e32 v19, v55, v0, vcc
; %bb.249:                              ;   in Loop: Header=BB4_71 Depth=2
	s_or_b64 exec, exec, s[76:77]
.LBB4_250:                              ;   in Loop: Header=BB4_71 Depth=2
	s_or_b64 exec, exec, s[74:75]
.LBB4_251:                              ;   in Loop: Header=BB4_71 Depth=2
	s_or_b64 exec, exec, s[18:19]
	v_mul_f32_e32 v27, v62, v19
	v_and_b32_e32 v36, 0x7f800000, v27
	v_mov_b32_e32 v37, v3
	v_cmp_ne_u64_e32 vcc, s[56:57], v[36:37]
	v_and_b32_e32 v19, 0x7fffff, v27
	v_mov_b32_e32 v20, v3
                                        ; implicit-def: $vgpr36
	s_and_saveexec_b64 s[18:19], vcc
	s_xor_b64 s[74:75], exec, s[18:19]
	s_cbranch_execz .LBB4_265
; %bb.252:                              ;   in Loop: Header=BB4_71 Depth=2
	v_and_b32_e32 v36, 0x7fffffff, v27
	v_mov_b32_e32 v37, v3
	v_cmp_gt_u64_e32 vcc, s[58:59], v[36:37]
	v_and_b32_sdwa v0, v27, s48 dst_sel:DWORD dst_unused:UNUSED_PAD src0_sel:BYTE_3 src1_sel:DWORD
                                        ; implicit-def: $vgpr36
	s_and_saveexec_b64 s[18:19], vcc
	s_xor_b64 s[76:77], exec, s[18:19]
	s_cbranch_execz .LBB4_262
; %bb.253:                              ;   in Loop: Header=BB4_71 Depth=2
	v_mov_b32_e32 v36, 0
	v_cmp_ne_u32_e32 vcc, 0, v27
	s_and_saveexec_b64 s[78:79], vcc
	s_cbranch_execz .LBB4_261
; %bb.254:                              ;   in Loop: Header=BB4_71 Depth=2
	v_bfe_u32 v36, v27, 23, 8
	v_cmp_gt_u32_e64 s[18:19], s49, v36
	v_sub_u32_e32 v27, 0x71, v36
	v_cmp_eq_u32_e32 vcc, 0, v36
	v_cndmask_b32_e64 v27, 0, v27, s[18:19]
	v_cndmask_b32_e32 v37, v27, v12, vcc
	v_or_b32_e32 v28, 0x800000, v19
	v_add_u32_e32 v27, 21, v37
	v_cndmask_b32_e32 v19, v28, v19, vcc
	v_lshlrev_b64 v[27:28], v27, -1
	v_add_u32_e32 v38, 20, v37
	v_bfi_b32 v27, v27, 0, v19
	v_lshlrev_b64 v[38:39], v38, 1
	v_lshrrev_b64 v[19:20], v37, v[19:20]
	v_bfi_b32 v28, v28, 0, 0
	v_cmp_eq_u64_e64 s[18:19], v[27:28], v[38:39]
	v_mov_b32_e32 v28, v20
	v_mov_b32_e32 v27, v19
	s_and_saveexec_b64 s[88:89], s[18:19]
; %bb.255:                              ;   in Loop: Header=BB4_71 Depth=2
	v_bfe_u32 v20, v19, 21, 1
	v_add_co_u32_e64 v20, s[18:19], v19, v20
	v_add_co_u32_e64 v27, s[18:19], -1, v20
; %bb.256:                              ;   in Loop: Header=BB4_71 Depth=2
	s_or_b64 exec, exec, s[88:89]
	v_add_u32_e32 v20, 0xffffff81, v36
	v_cndmask_b32_e32 v20, v20, v48, vcc
	v_lshrrev_b32_e32 v28, 23, v19
	v_add3_u32 v36, v37, v20, v28
	v_add_u32_e32 v28, 14, v36
	v_and_b32_e32 v20, 0x1fffff, v27
	v_add_u32_e32 v19, v20, v19
	v_mov_b32_e32 v20, v3
	v_cmp_ne_u32_e32 vcc, 0, v28
                                        ; implicit-def: $vgpr27
	s_and_saveexec_b64 s[18:19], vcc
	s_xor_b64 s[18:19], exec, s[18:19]
; %bb.257:                              ;   in Loop: Header=BB4_71 Depth=2
	v_cmp_lt_u64_e32 vcc, s[60:61], v[19:20]
	v_add_u32_e32 v27, 15, v36
	v_cndmask_b32_e32 v27, v28, v27, vcc
	v_cndmask_b32_e64 v28, 0, 1, vcc
	v_lshrrev_b64 v[19:20], v28, v[19:20]
; %bb.258:                              ;   in Loop: Header=BB4_71 Depth=2
	s_andn2_saveexec_b64 s[18:19], s[18:19]
; %bb.259:                              ;   in Loop: Header=BB4_71 Depth=2
	v_bfe_u32 v27, v19, 23, 1
; %bb.260:                              ;   in Loop: Header=BB4_71 Depth=2
	s_or_b64 exec, exec, s[18:19]
	v_lshrrev_b64 v[19:20], 21, v[19:20]
	v_cmp_gt_i32_e32 vcc, 32, v27
	v_cndmask_b32_e32 v20, 0, v20, vcc
	v_cndmask_b32_e32 v19, 3, v19, vcc
	v_cmp_eq_u64_e64 s[18:19], 0, v[19:20]
	v_min_i32_e32 v20, 31, v27
	v_lshlrev_b32_e32 v20, 2, v20
	v_cmp_eq_u32_e32 vcc, 0, v27
	v_and_b32_e32 v20, 0xfc, v20
	v_and_or_b32 v19, v19, 3, v20
	s_and_b64 s[18:19], vcc, s[18:19]
	v_cndmask_b32_e64 v19, v19, 0, s[18:19]
	v_or_b32_e32 v36, v19, v0
.LBB4_261:                              ;   in Loop: Header=BB4_71 Depth=2
	s_or_b64 exec, exec, s[78:79]
                                        ; implicit-def: $vgpr0
.LBB4_262:                              ;   in Loop: Header=BB4_71 Depth=2
	s_andn2_saveexec_b64 s[18:19], s[76:77]
; %bb.263:                              ;   in Loop: Header=BB4_71 Depth=2
	v_or_b32_e32 v36, 0x7b, v0
; %bb.264:                              ;   in Loop: Header=BB4_71 Depth=2
	s_or_b64 exec, exec, s[18:19]
                                        ; implicit-def: $vgpr27
                                        ; implicit-def: $vgpr19_vgpr20
.LBB4_265:                              ;   in Loop: Header=BB4_71 Depth=2
	s_andn2_saveexec_b64 s[18:19], s[74:75]
	s_cbranch_execz .LBB4_271
; %bb.266:                              ;   in Loop: Header=BB4_71 Depth=2
	v_cmp_ne_u64_e32 vcc, 0, v[19:20]
                                        ; implicit-def: $vgpr36
	s_and_saveexec_b64 s[74:75], vcc
	s_xor_b64 s[74:75], exec, s[74:75]
; %bb.267:                              ;   in Loop: Header=BB4_71 Depth=2
	v_or_b32_sdwa v36, v27, s50 dst_sel:DWORD dst_unused:UNUSED_PAD src0_sel:BYTE_3 src1_sel:DWORD
                                        ; implicit-def: $vgpr27
; %bb.268:                              ;   in Loop: Header=BB4_71 Depth=2
	s_andn2_saveexec_b64 s[74:75], s[74:75]
; %bb.269:                              ;   in Loop: Header=BB4_71 Depth=2
	v_cmp_lt_i32_e32 vcc, -1, v27
	v_cndmask_b32_e32 v36, v49, v11, vcc
; %bb.270:                              ;   in Loop: Header=BB4_71 Depth=2
	s_or_b64 exec, exec, s[74:75]
.LBB4_271:                              ;   in Loop: Header=BB4_71 Depth=2
	s_or_b64 exec, exec, s[18:19]
	v_cmp_lt_u32_e32 vcc, s47, v2
	v_mov_b32_e32 v19, 0
	s_and_saveexec_b64 s[18:19], vcc
	s_cbranch_execz .LBB4_279
; %bb.272:                              ;   in Loop: Header=BB4_71 Depth=2
	v_lshrrev_b32_e32 v0, 24, v2
	v_cmp_ne_u32_e32 vcc, s48, v0
	v_bfrev_b32_e32 v19, 1
	s_and_saveexec_b64 s[74:75], vcc
	s_cbranch_execz .LBB4_278
; %bb.273:                              ;   in Loop: Header=BB4_71 Depth=2
	v_and_b32_e32 v19, 0x7c000000, v2
	v_bfe_u32 v20, v2, 24, 2
	v_cmp_ne_u32_e32 vcc, s52, v19
                                        ; implicit-def: $vgpr19
	s_and_saveexec_b64 s[76:77], vcc
	s_xor_b64 s[76:77], exec, s[76:77]
	s_cbranch_execz .LBB4_275
; %bb.274:                              ;   in Loop: Header=BB4_71 Depth=2
	v_ffbh_u32_e32 v27, v20
	v_min_u32_e32 v37, 32, v27
	v_subrev_u32_e32 v27, 29, v37
	v_bfe_u32 v19, v2, 26, 5
	v_lshlrev_b64 v[27:28], v27, v[0:1]
	v_sub_u32_e32 v0, 30, v37
	v_cmp_eq_u32_e32 vcc, 0, v19
	v_and_b32_e32 v27, 3, v27
	v_cndmask_b32_e32 v0, v19, v0, vcc
	v_and_b32_e32 v2, 0x80000000, v2
	v_cndmask_b32_e32 v19, v20, v27, vcc
	v_lshl_add_u32 v0, v0, 23, v2
	v_lshl_or_b32 v0, v19, 21, v0
	v_add_u32_e32 v19, 0x38000000, v0
                                        ; implicit-def: $vgpr20
.LBB4_275:                              ;   in Loop: Header=BB4_71 Depth=2
	s_andn2_saveexec_b64 s[76:77], s[76:77]
; %bb.276:                              ;   in Loop: Header=BB4_71 Depth=2
	v_cmp_lt_i32_e32 vcc, -1, v2
	v_cndmask_b32_e32 v0, v8, v54, vcc
	v_cmp_eq_u32_e32 vcc, 0, v20
	v_cndmask_b32_e32 v19, v55, v0, vcc
; %bb.277:                              ;   in Loop: Header=BB4_71 Depth=2
	s_or_b64 exec, exec, s[76:77]
.LBB4_278:                              ;   in Loop: Header=BB4_71 Depth=2
	s_or_b64 exec, exec, s[74:75]
.LBB4_279:                              ;   in Loop: Header=BB4_71 Depth=2
	s_or_b64 exec, exec, s[18:19]
	v_mul_f32_e32 v20, v62, v19
	v_and_b32_e32 v27, 0x7f800000, v20
	v_mov_b32_e32 v28, v3
	v_cmp_ne_u64_e32 vcc, s[56:57], v[27:28]
	v_and_b32_e32 v2, 0x7fffff, v20
                                        ; implicit-def: $vgpr19
	s_and_saveexec_b64 s[18:19], vcc
	s_xor_b64 s[74:75], exec, s[18:19]
	s_cbranch_execz .LBB4_293
; %bb.280:                              ;   in Loop: Header=BB4_71 Depth=2
	v_and_b32_e32 v27, 0x7fffffff, v20
	v_mov_b32_e32 v28, v3
	v_cmp_gt_u64_e32 vcc, s[58:59], v[27:28]
	v_and_b32_sdwa v0, v20, s48 dst_sel:DWORD dst_unused:UNUSED_PAD src0_sel:BYTE_3 src1_sel:DWORD
                                        ; implicit-def: $vgpr19
	s_and_saveexec_b64 s[18:19], vcc
	s_xor_b64 s[76:77], exec, s[18:19]
	s_cbranch_execz .LBB4_290
; %bb.281:                              ;   in Loop: Header=BB4_71 Depth=2
	v_mov_b32_e32 v19, 0
	v_cmp_ne_u32_e32 vcc, 0, v20
	s_and_saveexec_b64 s[78:79], vcc
	s_cbranch_execz .LBB4_289
; %bb.282:                              ;   in Loop: Header=BB4_71 Depth=2
	v_bfe_u32 v37, v20, 23, 8
	v_cmp_gt_u32_e64 s[18:19], s49, v37
	v_sub_u32_e32 v19, 0x71, v37
	v_cmp_eq_u32_e32 vcc, 0, v37
	v_cndmask_b32_e64 v19, 0, v19, s[18:19]
	v_cndmask_b32_e32 v42, v19, v12, vcc
	v_or_b32_e32 v20, 0x800000, v2
	v_add_u32_e32 v19, 21, v42
	v_cndmask_b32_e32 v2, v20, v2, vcc
	v_lshlrev_b64 v[19:20], v19, -1
	v_add_u32_e32 v27, 20, v42
	v_lshlrev_b64 v[27:28], v27, 1
	v_bfi_b32 v20, v20, 0, 0
	v_bfi_b32 v19, v19, 0, v2
	v_cmp_eq_u64_e64 s[18:19], v[19:20], v[27:28]
	v_lshrrev_b64 v[19:20], v42, v[2:3]
	v_mov_b32_e32 v28, v20
	v_mov_b32_e32 v27, v19
	s_and_saveexec_b64 s[88:89], s[18:19]
; %bb.283:                              ;   in Loop: Header=BB4_71 Depth=2
	v_bfe_u32 v2, v19, 21, 1
	v_add_co_u32_e64 v2, s[18:19], v19, v2
	v_add_co_u32_e64 v27, s[18:19], -1, v2
; %bb.284:                              ;   in Loop: Header=BB4_71 Depth=2
	s_or_b64 exec, exec, s[88:89]
	v_add_u32_e32 v2, 0xffffff81, v37
	v_cndmask_b32_e32 v2, v2, v48, vcc
	v_lshrrev_b32_e32 v20, 23, v19
	v_add3_u32 v37, v42, v2, v20
	v_add_u32_e32 v28, 14, v37
	v_and_b32_e32 v2, 0x1fffff, v27
	v_add_u32_e32 v2, v2, v19
	v_cmp_ne_u32_e32 vcc, 0, v28
                                        ; implicit-def: $vgpr19_vgpr20
                                        ; implicit-def: $vgpr27
	s_and_saveexec_b64 s[18:19], vcc
	s_xor_b64 s[18:19], exec, s[18:19]
; %bb.285:                              ;   in Loop: Header=BB4_71 Depth=2
	v_cmp_lt_u64_e32 vcc, s[60:61], v[2:3]
	v_add_u32_e32 v19, 15, v37
	v_cndmask_b32_e32 v27, v28, v19, vcc
	v_cndmask_b32_e64 v19, 0, 1, vcc
	v_lshrrev_b64 v[19:20], v19, v[2:3]
; %bb.286:                              ;   in Loop: Header=BB4_71 Depth=2
	s_andn2_saveexec_b64 s[18:19], s[18:19]
; %bb.287:                              ;   in Loop: Header=BB4_71 Depth=2
	v_mov_b32_e32 v20, v3
	v_bfe_u32 v27, v2, 23, 1
	v_mov_b32_e32 v19, v2
; %bb.288:                              ;   in Loop: Header=BB4_71 Depth=2
	s_or_b64 exec, exec, s[18:19]
	v_lshrrev_b64 v[19:20], 21, v[19:20]
	v_cmp_gt_i32_e32 vcc, 32, v27
	v_cndmask_b32_e32 v20, 0, v20, vcc
	v_cndmask_b32_e32 v19, 3, v19, vcc
	v_min_i32_e32 v2, 31, v27
	v_cmp_eq_u64_e64 s[18:19], 0, v[19:20]
	v_lshlrev_b32_e32 v2, 2, v2
	v_cmp_eq_u32_e32 vcc, 0, v27
	v_and_b32_e32 v2, 0xfc, v2
	v_and_or_b32 v2, v19, 3, v2
	s_and_b64 s[18:19], vcc, s[18:19]
	v_cndmask_b32_e64 v2, v2, 0, s[18:19]
	v_or_b32_e32 v19, v2, v0
.LBB4_289:                              ;   in Loop: Header=BB4_71 Depth=2
	s_or_b64 exec, exec, s[78:79]
                                        ; implicit-def: $vgpr0
.LBB4_290:                              ;   in Loop: Header=BB4_71 Depth=2
	s_andn2_saveexec_b64 s[18:19], s[76:77]
; %bb.291:                              ;   in Loop: Header=BB4_71 Depth=2
	v_or_b32_e32 v19, 0x7b, v0
; %bb.292:                              ;   in Loop: Header=BB4_71 Depth=2
	s_or_b64 exec, exec, s[18:19]
                                        ; implicit-def: $vgpr20
.LBB4_293:                              ;   in Loop: Header=BB4_71 Depth=2
	s_andn2_saveexec_b64 s[18:19], s[74:75]
	s_cbranch_execz .LBB4_70
; %bb.294:                              ;   in Loop: Header=BB4_71 Depth=2
	v_cmp_ne_u64_e32 vcc, 0, v[2:3]
                                        ; implicit-def: $vgpr19
	s_and_saveexec_b64 s[74:75], vcc
	s_xor_b64 s[74:75], exec, s[74:75]
; %bb.295:                              ;   in Loop: Header=BB4_71 Depth=2
	v_or_b32_sdwa v19, v20, s50 dst_sel:DWORD dst_unused:UNUSED_PAD src0_sel:BYTE_3 src1_sel:DWORD
                                        ; implicit-def: $vgpr20
; %bb.296:                              ;   in Loop: Header=BB4_71 Depth=2
	s_andn2_saveexec_b64 s[74:75], s[74:75]
	s_cbranch_execz .LBB4_69
; %bb.297:                              ;   in Loop: Header=BB4_71 Depth=2
	v_cmp_lt_i32_e32 vcc, -1, v20
	v_cndmask_b32_e32 v19, v49, v11, vcc
	s_branch .LBB4_69
.LBB4_298:                              ;   in Loop: Header=BB4_32 Depth=1
	s_or_b64 exec, exec, s[72:73]
.LBB4_299:                              ;   in Loop: Header=BB4_32 Depth=1
	s_or_b64 exec, exec, s[62:63]
	v_and_b32_e32 v2, 0x7ffffff8, v21
	v_cmp_eq_u64_e32 vcc, s[44:45], v[2:3]
	v_cmp_gt_i32_e64 s[18:19], s36, v29
	s_and_b64 s[18:19], vcc, s[18:19]
	s_and_saveexec_b64 s[62:63], s[18:19]
	s_cbranch_execz .LBB4_302
; %bb.300:                              ;   in Loop: Header=BB4_32 Depth=1
	v_mul_lo_u32 v19, v10, s36
	v_ashrrev_i32_e32 v30, 31, v29
	v_lshlrev_b64 v[23:24], 4, v[29:30]
	v_mov_b32_e32 v17, v3
	v_ashrrev_i32_e32 v20, 31, v19
	v_lshlrev_b64 v[19:20], 4, v[19:20]
	s_mov_b64 s[72:73], 0
	s_waitcnt lgkmcnt(0)
	v_add_co_u32_e32 v0, vcc, v23, v19
	v_addc_co_u32_e32 v2, vcc, v24, v20, vcc
	buffer_load_dword v19, off, s[0:3], s32 offset:76 ; 4-byte Folded Reload
	buffer_load_dword v20, off, s[0:3], s32 offset:80 ; 4-byte Folded Reload
	s_waitcnt vmcnt(1)
	v_add_co_u32_e32 v27, vcc, v19, v0
	s_waitcnt vmcnt(0)
	v_addc_co_u32_e32 v28, vcc, v20, v2, vcc
.LBB4_301:                              ;   Parent Loop BB4_32 Depth=1
                                        ; =>  This Inner Loop Header: Depth=2
	v_mov_b32_e32 v19, v17
	v_mov_b32_e32 v20, v18
	v_add_u32_e32 v29, v29, v1
	global_store_dwordx4 v[27:28], v[17:20], off
	v_add_co_u32_e32 v27, vcc, v27, v5
	v_cmp_le_i32_e64 s[18:19], s36, v29
	s_or_b64 s[72:73], s[18:19], s[72:73]
	v_addc_co_u32_e32 v28, vcc, v28, v6, vcc
	s_andn2_b64 exec, exec, s[72:73]
	s_cbranch_execnz .LBB4_301
.LBB4_302:                              ;   in Loop: Header=BB4_32 Depth=1
	s_or_b64 exec, exec, s[62:63]
	buffer_load_dword v17, off, s[0:3], s32 offset:156 ; 4-byte Folded Reload
	buffer_load_dword v18, off, s[0:3], s32 offset:160 ; 4-byte Folded Reload
	v_add_co_u32_e64 v46, s[18:19], 1, v21
	v_addc_co_u32_e64 v47, s[18:19], 0, v22, s[18:19]
	s_waitcnt vmcnt(0)
	v_add_co_u32_e32 v23, vcc, v58, v17
	buffer_store_dword v58, off, s[0:3], s32 offset:144 ; 4-byte Folded Spill
	s_nop 0
	buffer_store_dword v59, off, s[0:3], s32 offset:148 ; 4-byte Folded Spill
	v_addc_co_u32_e32 v24, vcc, v59, v18, vcc
	s_andn2_b64 vcc, exec, s[42:43]
	s_cbranch_vccnz .LBB4_896
; %bb.303:                              ;   in Loop: Header=BB4_32 Depth=1
	s_waitcnt lgkmcnt(0)
	buffer_load_dword v0, off, s[0:3], s32 offset:220 ; 4-byte Folded Reload
	v_add_u16_e32 v26, 1, v21
	s_mov_b32 s53, 2
	buffer_store_dword v23, off, s[0:3], s32 offset:196 ; 4-byte Folded Spill
	buffer_store_dword v24, off, s[0:3], s32 offset:200 ; 4-byte Folded Spill
	s_waitcnt vmcnt(2)
	v_add_co_u32_e32 v17, vcc, v0, v23
	buffer_load_dword v0, off, s[0:3], s32 offset:224 ; 4-byte Folded Reload
	s_waitcnt vmcnt(0)
	v_addc_co_u32_e32 v18, vcc, v0, v24, vcc
	buffer_store_dword v17, off, s[0:3], s32 offset:112 ; 4-byte Folded Spill
	s_nop 0
	buffer_store_dword v18, off, s[0:3], s32 offset:116 ; 4-byte Folded Spill
	s_branch .LBB4_305
.LBB4_304:                              ;   in Loop: Header=BB4_305 Depth=2
	s_or_b64 exec, exec, s[62:63]
	v_add_co_u32_e32 v34, vcc, 1, v34
	v_addc_co_u32_e32 v35, vcc, 0, v35, vcc
	s_add_i32 s53, s53, 1
	v_add_co_u32_e32 v46, vcc, 1, v46
	v_addc_co_u32_e32 v47, vcc, 0, v47, vcc
	s_cmp_eq_u32 s53, s20
	v_add_u16_e32 v26, 1, v26
	s_cbranch_scc1 .LBB4_897
.LBB4_305:                              ;   Parent Loop BB4_32 Depth=1
                                        ; =>  This Loop Header: Depth=2
                                        ;       Child Loop BB4_310 Depth 3
                                        ;       Child Loop BB4_329 Depth 3
                                        ;       Child Loop BB4_350 Depth 3
                                        ;         Child Loop BB4_358 Depth 4
                                        ;       Child Loop BB4_885 Depth 3
                                        ;       Child Loop BB4_346 Depth 3
	s_sub_i32 s26, s20, s53
	s_lshl_b64 s[18:19], s[26:27], 2
	s_waitcnt lgkmcnt(0)
	v_mov_b32_e32 v0, s19
	v_add_co_u32_e32 v17, vcc, s18, v60
	v_addc_co_u32_e32 v18, vcc, v61, v0, vcc
	flat_load_dword v0, v[17:18]
	s_and_saveexec_b64 s[62:63], s[6:7]
	s_cbranch_execz .LBB4_321
; %bb.306:                              ;   in Loop: Header=BB4_305 Depth=2
	v_add_co_u32_e32 v17, vcc, 1, v15
	v_addc_co_u32_e32 v18, vcc, 0, v16, vcc
	v_add_co_u32_e32 v19, vcc, 8, v52
	v_addc_co_u32_e32 v20, vcc, 0, v53, vcc
	v_cmp_lt_u64_e32 vcc, v[19:20], v[17:18]
	s_and_saveexec_b64 s[72:73], vcc
	s_cbranch_execz .LBB4_318
; %bb.307:                              ;   in Loop: Header=BB4_305 Depth=2
	s_mov_b32 s26, 0
	v_cmp_eq_u32_e32 vcc, 0, v9
	s_mov_b64 s[74:75], 0
                                        ; implicit-def: $sgpr76_sgpr77
                                        ; implicit-def: $sgpr78_sgpr79
                                        ; implicit-def: $sgpr88_sgpr89
	s_branch .LBB4_310
.LBB4_308:                              ;   in Loop: Header=BB4_310 Depth=3
	s_or_b64 exec, exec, s[34:35]
	s_andn2_b64 s[18:19], s[88:89], exec
	s_and_b64 s[88:89], s[94:95], exec
	s_or_b64 s[88:89], s[18:19], s[88:89]
	s_andn2_b64 s[18:19], s[78:79], exec
	s_and_b64 s[78:79], s[92:93], exec
	s_or_b64 s[78:79], s[18:19], s[78:79]
.LBB4_309:                              ;   in Loop: Header=BB4_310 Depth=3
	s_or_b64 exec, exec, s[90:91]
	s_and_b64 s[18:19], exec, s[78:79]
	s_or_b64 s[74:75], s[18:19], s[74:75]
	s_andn2_b64 s[18:19], s[76:77], exec
	s_and_b64 s[76:77], s[88:89], exec
	s_or_b64 s[76:77], s[18:19], s[76:77]
	s_andn2_b64 exec, exec, s[74:75]
	s_cbranch_execz .LBB4_315
.LBB4_310:                              ;   Parent Loop BB4_32 Depth=1
                                        ;     Parent Loop BB4_305 Depth=2
                                        ; =>    This Inner Loop Header: Depth=3
	s_sleep 1
	s_waitcnt vmcnt(0) lgkmcnt(0)
	flat_load_dwordx2 v[52:53], v[50:51] glc
	v_mov_b32_e32 v9, 1
	s_or_b64 s[88:89], s[88:89], exec
	s_or_b64 s[78:79], s[78:79], exec
                                        ; implicit-def: $vgpr2
	s_and_saveexec_b64 s[90:91], vcc
	s_cbranch_execz .LBB4_309
; %bb.311:                              ;   in Loop: Header=BB4_310 Depth=3
	s_add_i32 s26, s26, 1
	s_cmpk_lg_i32 s26, 0x2710
	s_cselect_b64 s[30:31], -1, 0
	s_cmpk_eq_i32 s26, 0x2710
	s_mov_b64 s[92:93], -1
	s_mov_b64 s[94:95], -1
                                        ; implicit-def: $vgpr2
	s_cbranch_scc1 .LBB4_313
; %bb.312:                              ;   in Loop: Header=BB4_310 Depth=3
	v_mov_b32_e32 v9, 1
	s_and_saveexec_b64 s[34:35], s[30:31]
	s_cbranch_execz .LBB4_308
	s_branch .LBB4_314
.LBB4_313:                              ;   in Loop: Header=BB4_310 Depth=3
	s_trap 2
	s_waitcnt vmcnt(0) lgkmcnt(0)
	ds_read_b64 v[9:10], v0
	s_andn2_b64 s[30:31], s[30:31], exec
	s_mov_b32 s26, 0
	s_mov_b64 s[94:95], 0
	s_waitcnt lgkmcnt(0)
	flat_load_dword v2, v[9:10] glc
	s_waitcnt vmcnt(0) lgkmcnt(0)
	buffer_wbinvl1_vol
	v_cmp_eq_u32_e64 s[18:19], 0, v2
	s_and_b64 s[18:19], s[18:19], exec
	s_or_b64 s[30:31], s[30:31], s[18:19]
	v_mov_b32_e32 v9, 1
	s_and_saveexec_b64 s[34:35], s[30:31]
	s_cbranch_execz .LBB4_308
.LBB4_314:                              ;   in Loop: Header=BB4_310 Depth=3
	s_waitcnt vmcnt(0) lgkmcnt(0)
	v_add_co_u32_e64 v9, s[18:19], 8, v52
	v_addc_co_u32_e64 v10, s[18:19], 0, v53, s[18:19]
	v_cmp_ge_u64_e64 s[18:19], v[9:10], v[17:18]
	v_mov_b32_e32 v9, 0
	s_or_b64 s[94:95], s[94:95], exec
	s_orn2_b64 s[92:93], s[18:19], exec
	s_branch .LBB4_308
.LBB4_315:                              ;   in Loop: Header=BB4_305 Depth=2
	s_or_b64 exec, exec, s[74:75]
	s_xor_b64 s[18:19], s[76:77], -1
	s_and_saveexec_b64 s[74:75], s[18:19]
	s_xor_b64 s[18:19], exec, s[74:75]
	s_cbranch_execz .LBB4_317
; %bb.316:                              ;   in Loop: Header=BB4_305 Depth=2
	v_mov_b32_e32 v9, 1
	s_waitcnt vmcnt(0) lgkmcnt(0)
	ds_write_b32 v0, v2
	s_trap 2
.LBB4_317:                              ;   in Loop: Header=BB4_305 Depth=2
	s_or_b64 exec, exec, s[18:19]
.LBB4_318:                              ;   in Loop: Header=BB4_305 Depth=2
	s_or_b64 exec, exec, s[72:73]
	s_and_saveexec_b64 s[18:19], s[8:9]
	s_cbranch_execz .LBB4_320
; %bb.319:                              ;   in Loop: Header=BB4_305 Depth=2
	v_and_b32_e32 v2, 0x7ffffff8, v15
	v_cmp_eq_u64_e32 vcc, s[44:45], v[2:3]
	buffer_load_dword v2, off, s[0:3], s32 offset:128 ; 4-byte Folded Reload
	v_and_b32_e32 v10, 7, v15
	v_mad_u64_u32 v[15:16], s[72:73], v10, 24, v[13:14]
	v_mov_b32_e32 v10, s21
	s_waitcnt vmcnt(0)
	v_cndmask_b32_e32 v19, v2, v10, vcc
	v_ashrrev_i32_e32 v20, 31, v19
	flat_store_dwordx2 v[15:16], v[19:20] offset:8
	s_waitcnt vmcnt(0)
.LBB4_320:                              ;   in Loop: Header=BB4_305 Depth=2
	s_or_b64 exec, exec, s[18:19]
	v_mov_b32_e32 v15, v17
	v_mov_b32_e32 v16, v18
.LBB4_321:                              ;   in Loop: Header=BB4_305 Depth=2
	s_or_b64 exec, exec, s[62:63]
	s_and_saveexec_b64 s[18:19], s[10:11]
	s_cbranch_execz .LBB4_340
; %bb.322:                              ;   in Loop: Header=BB4_305 Depth=2
	s_and_saveexec_b64 s[62:63], s[40:41]
	s_xor_b64 s[62:63], exec, s[62:63]
	s_cbranch_execz .LBB4_337
; %bb.323:                              ;   in Loop: Header=BB4_305 Depth=2
	s_and_saveexec_b64 s[72:73], s[12:13]
	s_cbranch_execz .LBB4_336
; %bb.324:                              ;   in Loop: Header=BB4_305 Depth=2
	s_mov_b64 s[76:77], exec
	v_mbcnt_lo_u32_b32 v2, s76, 0
	v_mbcnt_hi_u32_b32 v2, s77, v2
	v_cmp_eq_u32_e32 vcc, 0, v2
	s_waitcnt vmcnt(0) lgkmcnt(0)
	buffer_wbinvl1_vol
	s_and_saveexec_b64 s[74:75], vcc
	s_cbranch_execz .LBB4_326
; %bb.325:                              ;   in Loop: Header=BB4_305 Depth=2
	s_bcnt1_i32_b64 s26, s[76:77]
	v_mov_b32_e32 v2, s26
	ds_add_u64 v0, v[2:3]
	s_trap 2
.LBB4_326:                              ;   in Loop: Header=BB4_305 Depth=2
	s_or_b64 exec, exec, s[74:75]
	s_trap 2
	ds_read_b64 v[17:18], v0
	s_waitcnt lgkmcnt(0)
	buffer_load_dword v2, off, s[0:3], s32 offset:132 ; 4-byte Folded Reload
	s_waitcnt vmcnt(0)
	v_add_co_u32_e32 v40, vcc, v40, v2
	v_addc_co_u32_e32 v41, vcc, 0, v41, vcc
	v_cmp_lt_u64_e32 vcc, v[17:18], v[40:41]
	s_and_saveexec_b64 s[74:75], vcc
	s_cbranch_execz .LBB4_335
; %bb.327:                              ;   in Loop: Header=BB4_305 Depth=2
	s_mov_b32 s26, 0
	s_mov_b64 s[76:77], 0
                                        ; implicit-def: $sgpr78_sgpr79
                                        ; implicit-def: $sgpr88_sgpr89
	s_branch .LBB4_329
.LBB4_328:                              ;   in Loop: Header=BB4_329 Depth=3
	s_or_b64 exec, exec, s[92:93]
	s_and_b64 s[90:91], exec, s[94:95]
	s_or_b64 s[76:77], s[90:91], s[76:77]
	s_andn2_b64 s[78:79], s[78:79], exec
	s_and_b64 s[90:91], s[88:89], exec
	s_or_b64 s[78:79], s[78:79], s[90:91]
	s_andn2_b64 exec, exec, s[76:77]
	s_cbranch_execz .LBB4_333
.LBB4_329:                              ;   Parent Loop BB4_32 Depth=1
                                        ;     Parent Loop BB4_305 Depth=2
                                        ; =>    This Inner Loop Header: Depth=3
	s_add_i32 s26, s26, 1
	s_cmpk_lg_i32 s26, 0x2710
	s_cselect_b64 s[90:91], -1, 0
	s_and_b64 vcc, exec, s[90:91]
	s_cbranch_vccz .LBB4_331
; %bb.330:                              ;   in Loop: Header=BB4_329 Depth=3
	s_mov_b64 s[94:95], -1
	s_or_b64 s[88:89], s[88:89], exec
	s_and_saveexec_b64 s[92:93], s[90:91]
	s_cbranch_execz .LBB4_328
	s_branch .LBB4_332
.LBB4_331:                              ;   in Loop: Header=BB4_329 Depth=3
	s_trap 2
	ds_read_b64 v[17:18], v0
	s_andn2_b64 s[90:91], s[90:91], exec
	s_mov_b32 s26, 0
	s_waitcnt lgkmcnt(0)
	flat_load_dword v2, v[17:18] glc
	s_waitcnt vmcnt(0) lgkmcnt(0)
	buffer_wbinvl1_vol
	v_cmp_eq_u32_e32 vcc, 0, v2
	s_and_b64 s[92:93], vcc, exec
	s_or_b64 s[90:91], s[90:91], s[92:93]
	s_mov_b64 s[94:95], -1
	s_or_b64 s[88:89], s[88:89], exec
	s_and_saveexec_b64 s[92:93], s[90:91]
	s_cbranch_execz .LBB4_328
.LBB4_332:                              ;   in Loop: Header=BB4_329 Depth=3
	s_sleep 1
	s_trap 2
	ds_read_b64 v[17:18], v0
	s_waitcnt lgkmcnt(0)
	s_andn2_b64 s[88:89], s[88:89], exec
	v_cmp_ge_u64_e32 vcc, v[17:18], v[40:41]
	s_orn2_b64 s[94:95], vcc, exec
	s_branch .LBB4_328
.LBB4_333:                              ;   in Loop: Header=BB4_305 Depth=2
	s_or_b64 exec, exec, s[76:77]
	s_and_saveexec_b64 s[76:77], s[78:79]
	s_xor_b64 s[76:77], exec, s[76:77]
	s_cbranch_execz .LBB4_335
; %bb.334:                              ;   in Loop: Header=BB4_305 Depth=2
	v_mov_b32_e32 v2, 1
	ds_write_b32 v0, v2
	s_trap 2
.LBB4_335:                              ;   in Loop: Header=BB4_305 Depth=2
	s_or_b64 exec, exec, s[74:75]
	;;#ASMSTART
	s_wakeup
	;;#ASMEND
.LBB4_336:                              ;   in Loop: Header=BB4_305 Depth=2
	s_or_b64 exec, exec, s[72:73]
.LBB4_337:                              ;   in Loop: Header=BB4_305 Depth=2
	s_andn2_saveexec_b64 s[62:63], s[62:63]
	s_cbranch_execz .LBB4_339
; %bb.338:                              ;   in Loop: Header=BB4_305 Depth=2
	s_waitcnt vmcnt(0) lgkmcnt(0)
	buffer_wbinvl1_vol
	s_barrier
.LBB4_339:                              ;   in Loop: Header=BB4_305 Depth=2
	s_or_b64 exec, exec, s[62:63]
.LBB4_340:                              ;   in Loop: Header=BB4_305 Depth=2
	s_or_b64 exec, exec, s[18:19]
	buffer_load_dword v58, off, s[0:3], s32 offset:60 ; 4-byte Folded Reload
	buffer_load_dword v59, off, s[0:3], s32 offset:64 ; 4-byte Folded Reload
	v_add_u32_e32 v18, 1, v46
	s_and_saveexec_b64 s[62:63], s[16:17]
	s_cbranch_execnz .LBB4_347
; %bb.341:                              ;   in Loop: Header=BB4_305 Depth=2
	s_or_b64 exec, exec, s[62:63]
	s_and_saveexec_b64 s[18:19], s[10:11]
	s_cbranch_execnz .LBB4_878
.LBB4_342:                              ;   in Loop: Header=BB4_305 Depth=2
	s_or_b64 exec, exec, s[18:19]
	s_and_saveexec_b64 s[18:19], s[14:15]
	s_cbranch_execz .LBB4_344
.LBB4_343:                              ;   in Loop: Header=BB4_305 Depth=2
	buffer_load_dword v19, off, s[0:3], s32 offset:96 ; 4-byte Folded Reload
	buffer_load_dword v20, off, s[0:3], s32 offset:100 ; 4-byte Folded Reload
	s_waitcnt vmcnt(0)
	v_add_co_u32_e32 v43, vcc, 1, v43
	v_addc_co_u32_e32 v44, vcc, 0, v44, vcc
	flat_store_dwordx2 v[19:20], v[43:44]
.LBB4_344:                              ;   in Loop: Header=BB4_305 Depth=2
	s_or_b64 exec, exec, s[18:19]
	v_and_b32_e32 v2, 0x7ffffff8, v46
	v_cmp_eq_u64_e32 vcc, s[44:45], v[2:3]
	s_waitcnt vmcnt(0)
	v_cmp_gt_i32_e64 s[18:19], s36, v58
	s_and_b64 s[18:19], vcc, s[18:19]
	s_and_saveexec_b64 s[62:63], s[18:19]
	s_cbranch_execz .LBB4_304
; %bb.345:                              ;   in Loop: Header=BB4_305 Depth=2
	s_waitcnt lgkmcnt(0)
	v_and_b32_e32 v0, 7, v26
	v_mul_lo_u32 v19, s36, v0
	v_ashrrev_i32_e32 v59, 31, v58
	v_lshlrev_b64 v[21:22], 4, v[58:59]
	v_mov_b32_e32 v17, v3
	v_ashrrev_i32_e32 v20, 31, v19
	v_lshlrev_b64 v[19:20], 4, v[19:20]
	s_mov_b64 s[72:73], 0
	v_add_co_u32_e32 v0, vcc, v21, v19
	v_addc_co_u32_e32 v2, vcc, v22, v20, vcc
	buffer_load_dword v19, off, s[0:3], s32 offset:76 ; 4-byte Folded Reload
	buffer_load_dword v20, off, s[0:3], s32 offset:80 ; 4-byte Folded Reload
	s_waitcnt vmcnt(1)
	v_add_co_u32_e32 v21, vcc, v19, v0
	s_waitcnt vmcnt(0)
	v_addc_co_u32_e32 v22, vcc, v20, v2, vcc
.LBB4_346:                              ;   Parent Loop BB4_32 Depth=1
                                        ;     Parent Loop BB4_305 Depth=2
                                        ; =>    This Inner Loop Header: Depth=3
	v_mov_b32_e32 v19, v17
	v_mov_b32_e32 v20, v18
	v_add_u32_e32 v58, v58, v1
	global_store_dwordx4 v[21:22], v[17:20], off
	v_add_co_u32_e32 v21, vcc, v21, v5
	v_cmp_le_i32_e64 s[18:19], s36, v58
	s_or_b64 s[72:73], s[18:19], s[72:73]
	v_addc_co_u32_e32 v22, vcc, v22, v6, vcc
	s_andn2_b64 exec, exec, s[72:73]
	s_cbranch_execnz .LBB4_346
	s_branch .LBB4_304
.LBB4_347:                              ;   in Loop: Header=BB4_305 Depth=2
	buffer_store_dword v43, off, s[0:3], s32 offset:68 ; 4-byte Folded Spill
	s_nop 0
	buffer_store_dword v44, off, s[0:3], s32 offset:72 ; 4-byte Folded Spill
	buffer_load_dword v10, off, s[0:3], s32 offset:88 ; 4-byte Folded Reload
	buffer_load_dword v19, off, s[0:3], s32 offset:112 ; 4-byte Folded Reload
	;; [unrolled: 1-line block ×6, first 2 shown]
	s_waitcnt vmcnt(0) lgkmcnt(0)
	v_ashrrev_i32_e32 v2, 31, v0
	v_add_u32_e32 v44, 1, v34
	s_mov_b64 s[72:73], 0
	v_mul_lo_u32 v2, v10, v2
	v_mad_u64_u32 v[60:61], s[18:19], v10, v0, v[19:20]
	v_mul_lo_u32 v0, v17, v0
	v_and_b32_e32 v10, 7, v34
	v_mul_lo_u32 v19, v10, s36
	v_mov_b32_e32 v10, v4
	v_add3_u32 v61, v0, v61, v2
	v_and_b32_e32 v0, 7, v46
	v_mul_lo_u32 v21, v0, s36
	v_ashrrev_i32_e32 v20, 31, v19
	v_lshlrev_b64 v[19:20], 4, v[19:20]
	v_add_co_u32_e32 v32, vcc, v22, v19
	v_ashrrev_i32_e32 v22, 31, v21
	v_addc_co_u32_e32 v33, vcc, v23, v20, vcc
	v_lshlrev_b64 v[19:20], 4, v[21:22]
	buffer_load_dword v21, off, s[0:3], s32 offset:76 ; 4-byte Folded Reload
	buffer_load_dword v22, off, s[0:3], s32 offset:80 ; 4-byte Folded Reload
	;; [unrolled: 1-line block ×4, first 2 shown]
	s_waitcnt vmcnt(3)
	v_add_co_u32_e32 v45, vcc, v21, v19
	s_waitcnt vmcnt(2)
	v_addc_co_u32_e32 v31, vcc, v22, v20, vcc
	s_branch .LBB4_350
.LBB4_348:                              ;   in Loop: Header=BB4_350 Depth=3
	s_or_b64 exec, exec, s[74:75]
.LBB4_349:                              ;   in Loop: Header=BB4_350 Depth=3
	s_or_b64 exec, exec, s[18:19]
	v_add_co_u32_e32 v60, vcc, v60, v25
	v_addc_co_u32_e32 v61, vcc, 0, v61, vcc
	v_lshlrev_b32_e32 v0, 8, v56
	v_lshlrev_b32_e32 v2, 16, v42
	v_or3_b32 v0, v0, v17, v2
	v_lshlrev_b32_e32 v17, 8, v23
	v_lshlrev_b32_e32 v20, 16, v27
	v_add_co_u32_e32 v21, vcc, v45, v29
	v_or3_b32 v20, v17, v22, v20
	v_addc_co_u32_e32 v22, vcc, v31, v30, vcc
	v_sub_u32_e32 v10, v10, v25
	v_lshlrev_b32_e32 v2, 24, v24
	v_lshlrev_b32_e32 v19, 24, v19
	v_cmp_gt_i32_e32 vcc, 1, v10
	v_or3_b32 v17, v0, v2, 0
	v_or3_b32 v19, v20, v19, 0
	v_mov_b32_e32 v20, v18
	s_or_b64 s[72:73], vcc, s[72:73]
	v_add_u32_e32 v58, v58, v1
	global_store_dwordx4 v[21:22], v[17:20], off
	s_andn2_b64 exec, exec, s[72:73]
	s_cbranch_execz .LBB4_877
.LBB4_350:                              ;   Parent Loop BB4_32 Depth=1
                                        ;     Parent Loop BB4_305 Depth=2
                                        ; =>    This Loop Header: Depth=3
                                        ;         Child Loop BB4_358 Depth 4
	v_and_b32_e32 v19, -4, v60
	v_mov_b32_e32 v20, v61
	global_load_dword v0, v[19:20], off glc slc
	v_min_u32_e32 v2, 8, v10
	v_and_b32_e32 v17, 3, v60
	v_add_u32_e32 v2, v17, v2
	v_cmp_lt_u32_e32 vcc, 4, v2
	v_mov_b32_e32 v23, 0
	v_mov_b32_e32 v36, 0
	s_and_saveexec_b64 s[18:19], vcc
	s_cbranch_execz .LBB4_352
; %bb.351:                              ;   in Loop: Header=BB4_350 Depth=3
	global_load_dword v36, v[19:20], off offset:4 glc slc
.LBB4_352:                              ;   in Loop: Header=BB4_350 Depth=3
	s_or_b64 exec, exec, s[18:19]
	v_cmp_lt_u64_e32 vcc, 8, v[2:3]
	s_and_saveexec_b64 s[18:19], vcc
	s_cbranch_execz .LBB4_354
; %bb.353:                              ;   in Loop: Header=BB4_350 Depth=3
	global_load_dword v23, v[19:20], off offset:8 glc slc
.LBB4_354:                              ;   in Loop: Header=BB4_350 Depth=3
	s_or_b64 exec, exec, s[18:19]
	s_waitcnt vmcnt(1)
	v_mov_b32_e32 v59, v3
	v_lshlrev_b64 v[29:30], 4, v[58:59]
	v_add_co_u32_e32 v27, vcc, v32, v29
	v_addc_co_u32_e32 v28, vcc, v33, v30, vcc
	global_load_dwordx4 v[19:22], v[27:28], off glc slc
	v_cmp_eq_u32_e32 vcc, 0, v9
	v_mov_b32_e32 v9, 1
	s_and_saveexec_b64 s[74:75], vcc
	s_cbranch_execz .LBB4_366
; %bb.355:                              ;   in Loop: Header=BB4_350 Depth=3
	s_waitcnt vmcnt(0)
	v_cmp_ne_u32_e32 vcc, v44, v20
	v_cmp_ne_u32_e64 s[18:19], v44, v22
	s_or_b64 s[18:19], vcc, s[18:19]
	v_mov_b32_e32 v9, 0
	s_and_saveexec_b64 s[76:77], s[18:19]
	s_cbranch_execz .LBB4_365
; %bb.356:                              ;   in Loop: Header=BB4_350 Depth=3
	s_mov_b32 s26, 1
	s_mov_b64 s[88:89], 0
                                        ; implicit-def: $sgpr78_sgpr79
                                        ; implicit-def: $sgpr90_sgpr91
	s_branch .LBB4_358
.LBB4_357:                              ;   in Loop: Header=BB4_358 Depth=4
	s_or_b64 exec, exec, s[94:95]
	s_and_b64 s[18:19], exec, s[18:19]
	s_or_b64 s[88:89], s[18:19], s[88:89]
	s_andn2_b64 s[18:19], s[78:79], exec
	s_and_b64 s[78:79], s[90:91], exec
	s_or_b64 s[78:79], s[18:19], s[78:79]
	s_andn2_b64 exec, exec, s[88:89]
	s_cbranch_execz .LBB4_362
.LBB4_358:                              ;   Parent Loop BB4_32 Depth=1
                                        ;     Parent Loop BB4_305 Depth=2
                                        ;       Parent Loop BB4_350 Depth=3
                                        ; =>      This Inner Loop Header: Depth=4
	global_load_dwordx4 v[19:22], v[27:28], off glc slc
	s_add_i32 s26, s26, 1
	s_mov_b64 s[18:19], -1
	s_cmpk_lg_i32 s26, 0x2710
	s_mov_b64 s[92:93], -1
                                        ; implicit-def: $vgpr2
	s_cbranch_scc0 .LBB4_360
; %bb.359:                              ;   in Loop: Header=BB4_358 Depth=4
	s_or_b64 s[90:91], s[90:91], exec
	s_and_saveexec_b64 s[94:95], s[92:93]
	s_cbranch_execz .LBB4_357
	s_branch .LBB4_361
.LBB4_360:                              ;   in Loop: Header=BB4_358 Depth=4
	s_trap 2
	ds_read_b64 v[37:38], v0
	s_mov_b32 s26, 0
	s_waitcnt vmcnt(0) lgkmcnt(0)
	flat_load_dword v2, v[37:38] glc
	s_waitcnt vmcnt(0) lgkmcnt(0)
	buffer_wbinvl1_vol
	v_cmp_eq_u32_e32 vcc, 0, v2
	s_orn2_b64 s[92:93], vcc, exec
	s_or_b64 s[90:91], s[90:91], exec
	s_and_saveexec_b64 s[94:95], s[92:93]
	s_cbranch_execz .LBB4_357
.LBB4_361:                              ;   in Loop: Header=BB4_358 Depth=4
	s_waitcnt vmcnt(0)
	v_cmp_eq_u32_e32 vcc, v44, v20
	v_cmp_eq_u32_e64 s[18:19], v44, v22
	s_and_b64 s[18:19], vcc, s[18:19]
	s_andn2_b64 s[90:91], s[90:91], exec
	s_orn2_b64 s[18:19], s[18:19], exec
	s_branch .LBB4_357
.LBB4_362:                              ;   in Loop: Header=BB4_350 Depth=3
	s_or_b64 exec, exec, s[88:89]
	v_mov_b32_e32 v9, 0
	s_and_saveexec_b64 s[18:19], s[78:79]
	s_xor_b64 s[18:19], exec, s[18:19]
	s_cbranch_execz .LBB4_364
; %bb.363:                              ;   in Loop: Header=BB4_350 Depth=3
	v_mov_b32_e32 v9, 1
	ds_write_b32 v0, v2
	s_trap 2
.LBB4_364:                              ;   in Loop: Header=BB4_350 Depth=3
	s_or_b64 exec, exec, s[18:19]
.LBB4_365:                              ;   in Loop: Header=BB4_350 Depth=3
	s_or_b64 exec, exec, s[76:77]
.LBB4_366:                              ;   in Loop: Header=BB4_350 Depth=3
	s_or_b64 exec, exec, s[74:75]
	v_lshlrev_b32_e32 v57, 3, v60
	s_waitcnt vmcnt(1)
	v_alignbit_b32 v2, v36, v0, v57
	v_cmp_ne_u16_sdwa s[74:75], v2, v3 src0_sel:BYTE_0 src1_sel:DWORD
	v_mov_b32_e32 v0, 0
	s_and_saveexec_b64 s[18:19], s[74:75]
	s_cbranch_execz .LBB4_374
; %bb.367:                              ;   in Loop: Header=BB4_350 Depth=3
	v_cmp_ne_u16_sdwa s[76:77], sext(v2), s38 src0_sel:BYTE_0 src1_sel:DWORD
	v_bfrev_b32_e32 v0, 1
	s_and_saveexec_b64 s[74:75], s[76:77]
	s_cbranch_execz .LBB4_373
; %bb.368:                              ;   in Loop: Header=BB4_350 Depth=3
	v_and_b32_e32 v0, 0x7c, v2
	v_and_b32_e32 v17, 3, v2
	v_cmp_ne_u32_e32 vcc, s39, v0
                                        ; implicit-def: $vgpr0
	s_and_saveexec_b64 s[76:77], vcc
	s_xor_b64 s[76:77], exec, s[76:77]
	s_cbranch_execz .LBB4_370
; %bb.369:                              ;   in Loop: Header=BB4_350 Depth=3
	v_ffbh_u32_e32 v24, v17
	v_min_u32_e32 v24, 32, v24
	v_bfe_u32 v0, v2, 2, 5
	v_subrev_u32_e32 v27, 29, v24
	v_lshlrev_b64 v[27:28], v27, v[2:3]
	v_sub_u32_e32 v24, 30, v24
	v_cmp_eq_u32_e32 vcc, 0, v0
	v_cndmask_b32_e32 v0, v0, v24, vcc
	v_lshlrev_b32_e32 v24, 24, v2
	v_and_b32_e32 v27, 3, v27
	v_and_b32_e32 v24, 0x80000000, v24
	v_cndmask_b32_e32 v17, v17, v27, vcc
	v_lshl_add_u32 v0, v0, 23, v24
	v_lshl_or_b32 v0, v17, 21, v0
	v_add_u32_e32 v0, 0x38000000, v0
                                        ; implicit-def: $vgpr17
.LBB4_370:                              ;   in Loop: Header=BB4_350 Depth=3
	s_andn2_saveexec_b64 s[76:77], s[76:77]
; %bb.371:                              ;   in Loop: Header=BB4_350 Depth=3
	v_cmp_gt_i16_sdwa vcc, sext(v2), v7 src0_sel:BYTE_0 src1_sel:DWORD
	v_cndmask_b32_e32 v0, v8, v54, vcc
	v_cmp_eq_u32_e32 vcc, 0, v17
	v_cndmask_b32_e32 v0, v55, v0, vcc
; %bb.372:                              ;   in Loop: Header=BB4_350 Depth=3
	s_or_b64 exec, exec, s[76:77]
.LBB4_373:                              ;   in Loop: Header=BB4_350 Depth=3
	s_or_b64 exec, exec, s[74:75]
.LBB4_374:                              ;   in Loop: Header=BB4_350 Depth=3
	s_or_b64 exec, exec, s[18:19]
	v_mul_f32_e32 v24, v62, v0
	v_and_b32_e32 v37, 0x7f800000, v24
	v_mov_b32_e32 v38, v3
	v_cmp_ne_u64_e32 vcc, s[56:57], v[37:38]
	v_and_b32_e32 v27, 0x7fffff, v24
	v_mov_b32_e32 v28, v3
                                        ; implicit-def: $vgpr17
	s_and_saveexec_b64 s[18:19], vcc
	s_xor_b64 s[74:75], exec, s[18:19]
	s_cbranch_execz .LBB4_388
; %bb.375:                              ;   in Loop: Header=BB4_350 Depth=3
	v_and_b32_e32 v37, 0x7fffffff, v24
	v_mov_b32_e32 v38, v3
	v_cmp_gt_u64_e32 vcc, s[58:59], v[37:38]
	v_and_b32_sdwa v0, v24, s48 dst_sel:DWORD dst_unused:UNUSED_PAD src0_sel:BYTE_3 src1_sel:DWORD
                                        ; implicit-def: $vgpr17
	s_and_saveexec_b64 s[18:19], vcc
	s_xor_b64 s[76:77], exec, s[18:19]
	s_cbranch_execz .LBB4_385
; %bb.376:                              ;   in Loop: Header=BB4_350 Depth=3
	v_mov_b32_e32 v17, 0
	v_cmp_ne_u32_e32 vcc, 0, v24
	s_and_saveexec_b64 s[78:79], vcc
	s_cbranch_execz .LBB4_384
; %bb.377:                              ;   in Loop: Header=BB4_350 Depth=3
	v_bfe_u32 v17, v24, 23, 8
	v_cmp_gt_u32_e64 s[18:19], s49, v17
	v_sub_u32_e32 v24, 0x71, v17
	v_cmp_eq_u32_e32 vcc, 0, v17
	v_cndmask_b32_e64 v24, 0, v24, s[18:19]
	v_or_b32_e32 v37, 0x800000, v27
	v_cndmask_b32_e32 v24, v24, v12, vcc
	v_cndmask_b32_e32 v27, v37, v27, vcc
	v_add_u32_e32 v37, 21, v24
	v_lshlrev_b64 v[37:38], v37, -1
	v_add_u32_e32 v39, 20, v24
	v_bfi_b32 v37, v37, 0, v27
	v_lshlrev_b64 v[42:43], v39, 1
	v_lshrrev_b64 v[27:28], v24, v[27:28]
	v_bfi_b32 v38, v38, 0, 0
	v_cmp_eq_u64_e64 s[18:19], v[37:38], v[42:43]
	v_mov_b32_e32 v43, v28
	v_mov_b32_e32 v42, v27
	s_and_saveexec_b64 s[88:89], s[18:19]
; %bb.378:                              ;   in Loop: Header=BB4_350 Depth=3
	v_bfe_u32 v28, v27, 21, 1
	v_add_co_u32_e64 v28, s[18:19], v27, v28
	v_add_co_u32_e64 v42, s[18:19], -1, v28
; %bb.379:                              ;   in Loop: Header=BB4_350 Depth=3
	s_or_b64 exec, exec, s[88:89]
	v_add_u32_e32 v17, 0xffffff81, v17
	v_cndmask_b32_e32 v17, v17, v48, vcc
	v_lshrrev_b32_e32 v28, 23, v27
	v_add3_u32 v37, v24, v17, v28
	v_add_u32_e32 v24, 14, v37
	v_and_b32_e32 v17, 0x1fffff, v42
	v_add_u32_e32 v27, v17, v27
	v_mov_b32_e32 v28, v3
	v_cmp_ne_u32_e32 vcc, 0, v24
                                        ; implicit-def: $vgpr17
	s_and_saveexec_b64 s[18:19], vcc
	s_xor_b64 s[18:19], exec, s[18:19]
; %bb.380:                              ;   in Loop: Header=BB4_350 Depth=3
	v_cmp_lt_u64_e32 vcc, s[60:61], v[27:28]
	v_add_u32_e32 v17, 15, v37
	v_cndmask_b32_e32 v17, v24, v17, vcc
	v_cndmask_b32_e64 v24, 0, 1, vcc
	v_lshrrev_b64 v[27:28], v24, v[27:28]
; %bb.381:                              ;   in Loop: Header=BB4_350 Depth=3
	s_andn2_saveexec_b64 s[18:19], s[18:19]
; %bb.382:                              ;   in Loop: Header=BB4_350 Depth=3
	v_bfe_u32 v17, v27, 23, 1
; %bb.383:                              ;   in Loop: Header=BB4_350 Depth=3
	s_or_b64 exec, exec, s[18:19]
	v_lshrrev_b64 v[27:28], 21, v[27:28]
	v_cmp_gt_i32_e32 vcc, 32, v17
	v_cndmask_b32_e32 v28, 0, v28, vcc
	v_cndmask_b32_e32 v27, 3, v27, vcc
	v_cmp_eq_u32_e32 vcc, 0, v17
	v_min_i32_e32 v17, 31, v17
	v_cmp_eq_u64_e64 s[18:19], 0, v[27:28]
	v_lshlrev_b32_e32 v17, 2, v17
	v_and_b32_e32 v17, 0xfc, v17
	v_and_or_b32 v17, v27, 3, v17
	s_and_b64 s[18:19], vcc, s[18:19]
	v_cndmask_b32_e64 v17, v17, 0, s[18:19]
	v_or_b32_e32 v17, v17, v0
.LBB4_384:                              ;   in Loop: Header=BB4_350 Depth=3
	s_or_b64 exec, exec, s[78:79]
                                        ; implicit-def: $vgpr0
.LBB4_385:                              ;   in Loop: Header=BB4_350 Depth=3
	s_andn2_saveexec_b64 s[18:19], s[76:77]
; %bb.386:                              ;   in Loop: Header=BB4_350 Depth=3
	v_or_b32_e32 v17, 0x7b, v0
; %bb.387:                              ;   in Loop: Header=BB4_350 Depth=3
	s_or_b64 exec, exec, s[18:19]
                                        ; implicit-def: $vgpr24
                                        ; implicit-def: $vgpr27_vgpr28
.LBB4_388:                              ;   in Loop: Header=BB4_350 Depth=3
	s_andn2_saveexec_b64 s[18:19], s[74:75]
	s_cbranch_execz .LBB4_394
; %bb.389:                              ;   in Loop: Header=BB4_350 Depth=3
	v_cmp_ne_u64_e32 vcc, 0, v[27:28]
                                        ; implicit-def: $vgpr17
	s_and_saveexec_b64 s[74:75], vcc
	s_xor_b64 s[74:75], exec, s[74:75]
; %bb.390:                              ;   in Loop: Header=BB4_350 Depth=3
	v_or_b32_sdwa v17, v24, s50 dst_sel:DWORD dst_unused:UNUSED_PAD src0_sel:BYTE_3 src1_sel:DWORD
                                        ; implicit-def: $vgpr24
; %bb.391:                              ;   in Loop: Header=BB4_350 Depth=3
	s_andn2_saveexec_b64 s[74:75], s[74:75]
; %bb.392:                              ;   in Loop: Header=BB4_350 Depth=3
	v_cmp_lt_i32_e32 vcc, -1, v24
	v_cndmask_b32_e32 v17, v49, v11, vcc
; %bb.393:                              ;   in Loop: Header=BB4_350 Depth=3
	s_or_b64 exec, exec, s[74:75]
.LBB4_394:                              ;   in Loop: Header=BB4_350 Depth=3
	s_or_b64 exec, exec, s[18:19]
	v_lshrrev_b16_e32 v27, 8, v2
	v_cmp_ne_u16_e32 vcc, 0, v27
	v_mov_b32_e32 v0, 0
	s_and_saveexec_b64 s[18:19], vcc
	s_cbranch_execz .LBB4_402
; %bb.395:                              ;   in Loop: Header=BB4_350 Depth=3
	v_cmp_ne_u16_e32 vcc, s48, v27
	v_bfrev_b32_e32 v0, 1
	s_and_saveexec_b64 s[74:75], vcc
	s_cbranch_execz .LBB4_401
; %bb.396:                              ;   in Loop: Header=BB4_350 Depth=3
	v_and_b32_e32 v0, 0x7c, v27
	v_and_b32_e32 v24, 3, v27
	v_cmp_ne_u32_e32 vcc, s39, v0
                                        ; implicit-def: $vgpr0
	s_and_saveexec_b64 s[76:77], vcc
	s_xor_b64 s[76:77], exec, s[76:77]
	s_cbranch_execz .LBB4_398
; %bb.397:                              ;   in Loop: Header=BB4_350 Depth=3
	v_ffbh_u32_e32 v37, v24
	v_min_u32_e32 v37, 32, v37
	v_mov_b32_e32 v28, v3
	v_subrev_u32_e32 v38, 29, v37
	v_bfe_u32 v0, v27, 2, 5
	v_lshlrev_b64 v[27:28], v38, v[27:28]
	v_cmp_eq_u32_e32 vcc, 0, v0
	v_and_b32_e32 v27, 3, v27
	v_sub_u32_e32 v28, 30, v37
	v_cndmask_b32_e32 v24, v24, v27, vcc
	v_lshlrev_b32_e32 v27, 16, v2
	v_cndmask_b32_e32 v0, v0, v28, vcc
	v_and_b32_e32 v27, 0x80000000, v27
	v_lshl_add_u32 v0, v0, 23, v27
	v_lshl_or_b32 v0, v24, 21, v0
	v_add_u32_e32 v0, 0x38000000, v0
                                        ; implicit-def: $vgpr24
.LBB4_398:                              ;   in Loop: Header=BB4_350 Depth=3
	s_andn2_saveexec_b64 s[76:77], s[76:77]
; %bb.399:                              ;   in Loop: Header=BB4_350 Depth=3
	v_cmp_lt_i16_e32 vcc, -1, v2
	v_cndmask_b32_e32 v0, v8, v54, vcc
	v_cmp_eq_u32_e32 vcc, 0, v24
	v_cndmask_b32_e32 v0, v55, v0, vcc
; %bb.400:                              ;   in Loop: Header=BB4_350 Depth=3
	s_or_b64 exec, exec, s[76:77]
.LBB4_401:                              ;   in Loop: Header=BB4_350 Depth=3
	s_or_b64 exec, exec, s[74:75]
.LBB4_402:                              ;   in Loop: Header=BB4_350 Depth=3
	s_or_b64 exec, exec, s[18:19]
	v_mul_f32_e32 v37, v62, v0
	v_and_b32_e32 v38, 0x7f800000, v37
	v_mov_b32_e32 v39, v3
	v_cmp_ne_u64_e32 vcc, s[56:57], v[38:39]
	v_and_b32_e32 v27, 0x7fffff, v37
	v_mov_b32_e32 v28, v3
                                        ; implicit-def: $vgpr24
	s_and_saveexec_b64 s[18:19], vcc
	s_xor_b64 s[74:75], exec, s[18:19]
	s_cbranch_execz .LBB4_416
; %bb.403:                              ;   in Loop: Header=BB4_350 Depth=3
	v_and_b32_e32 v38, 0x7fffffff, v37
	v_mov_b32_e32 v39, v3
	v_cmp_gt_u64_e32 vcc, s[58:59], v[38:39]
	v_and_b32_sdwa v0, v37, s48 dst_sel:DWORD dst_unused:UNUSED_PAD src0_sel:BYTE_3 src1_sel:DWORD
                                        ; implicit-def: $vgpr24
	s_and_saveexec_b64 s[18:19], vcc
	s_xor_b64 s[76:77], exec, s[18:19]
	s_cbranch_execz .LBB4_413
; %bb.404:                              ;   in Loop: Header=BB4_350 Depth=3
	v_mov_b32_e32 v24, 0
	v_cmp_ne_u32_e32 vcc, 0, v37
	s_and_saveexec_b64 s[78:79], vcc
	s_cbranch_execz .LBB4_412
; %bb.405:                              ;   in Loop: Header=BB4_350 Depth=3
	v_bfe_u32 v24, v37, 23, 8
	v_cmp_gt_u32_e64 s[18:19], s49, v24
	v_sub_u32_e32 v37, 0x71, v24
	v_cmp_eq_u32_e32 vcc, 0, v24
	v_cndmask_b32_e64 v37, 0, v37, s[18:19]
	v_or_b32_e32 v38, 0x800000, v27
	v_cndmask_b32_e32 v37, v37, v12, vcc
	v_cndmask_b32_e32 v27, v38, v27, vcc
	v_add_u32_e32 v38, 21, v37
	v_lshlrev_b64 v[38:39], v38, -1
	v_add_u32_e32 v42, 20, v37
	v_bfi_b32 v38, v38, 0, v27
	v_lshlrev_b64 v[42:43], v42, 1
	v_lshrrev_b64 v[27:28], v37, v[27:28]
	v_bfi_b32 v39, v39, 0, 0
	v_cmp_eq_u64_e64 s[18:19], v[38:39], v[42:43]
	v_mov_b32_e32 v43, v28
	v_mov_b32_e32 v42, v27
	s_and_saveexec_b64 s[88:89], s[18:19]
; %bb.406:                              ;   in Loop: Header=BB4_350 Depth=3
	v_bfe_u32 v28, v27, 21, 1
	v_add_co_u32_e64 v28, s[18:19], v27, v28
	v_add_co_u32_e64 v42, s[18:19], -1, v28
; %bb.407:                              ;   in Loop: Header=BB4_350 Depth=3
	s_or_b64 exec, exec, s[88:89]
	v_add_u32_e32 v24, 0xffffff81, v24
	v_cndmask_b32_e32 v24, v24, v48, vcc
	v_lshrrev_b32_e32 v28, 23, v27
	v_add3_u32 v38, v37, v24, v28
	v_add_u32_e32 v37, 14, v38
	v_and_b32_e32 v24, 0x1fffff, v42
	v_add_u32_e32 v27, v24, v27
	v_mov_b32_e32 v28, v3
	v_cmp_ne_u32_e32 vcc, 0, v37
                                        ; implicit-def: $vgpr24
	s_and_saveexec_b64 s[18:19], vcc
	s_xor_b64 s[18:19], exec, s[18:19]
; %bb.408:                              ;   in Loop: Header=BB4_350 Depth=3
	v_cmp_lt_u64_e32 vcc, s[60:61], v[27:28]
	v_add_u32_e32 v24, 15, v38
	v_cndmask_b32_e32 v24, v37, v24, vcc
	v_cndmask_b32_e64 v37, 0, 1, vcc
	v_lshrrev_b64 v[27:28], v37, v[27:28]
; %bb.409:                              ;   in Loop: Header=BB4_350 Depth=3
	s_andn2_saveexec_b64 s[18:19], s[18:19]
; %bb.410:                              ;   in Loop: Header=BB4_350 Depth=3
	v_bfe_u32 v24, v27, 23, 1
; %bb.411:                              ;   in Loop: Header=BB4_350 Depth=3
	s_or_b64 exec, exec, s[18:19]
	v_lshrrev_b64 v[27:28], 21, v[27:28]
	v_cmp_gt_i32_e32 vcc, 32, v24
	v_cndmask_b32_e32 v28, 0, v28, vcc
	v_cndmask_b32_e32 v27, 3, v27, vcc
	v_cmp_eq_u32_e32 vcc, 0, v24
	v_min_i32_e32 v24, 31, v24
	v_cmp_eq_u64_e64 s[18:19], 0, v[27:28]
	v_lshlrev_b32_e32 v24, 2, v24
	v_and_b32_e32 v24, 0xfc, v24
	v_and_or_b32 v24, v27, 3, v24
	s_and_b64 s[18:19], vcc, s[18:19]
	v_cndmask_b32_e64 v24, v24, 0, s[18:19]
	v_or_b32_e32 v24, v24, v0
.LBB4_412:                              ;   in Loop: Header=BB4_350 Depth=3
	s_or_b64 exec, exec, s[78:79]
                                        ; implicit-def: $vgpr0
.LBB4_413:                              ;   in Loop: Header=BB4_350 Depth=3
	s_andn2_saveexec_b64 s[18:19], s[76:77]
; %bb.414:                              ;   in Loop: Header=BB4_350 Depth=3
	v_or_b32_e32 v24, 0x7b, v0
; %bb.415:                              ;   in Loop: Header=BB4_350 Depth=3
	s_or_b64 exec, exec, s[18:19]
                                        ; implicit-def: $vgpr37
                                        ; implicit-def: $vgpr27_vgpr28
.LBB4_416:                              ;   in Loop: Header=BB4_350 Depth=3
	s_andn2_saveexec_b64 s[18:19], s[74:75]
	s_cbranch_execz .LBB4_422
; %bb.417:                              ;   in Loop: Header=BB4_350 Depth=3
	v_cmp_ne_u64_e32 vcc, 0, v[27:28]
                                        ; implicit-def: $vgpr24
	s_and_saveexec_b64 s[74:75], vcc
	s_xor_b64 s[74:75], exec, s[74:75]
; %bb.418:                              ;   in Loop: Header=BB4_350 Depth=3
	v_or_b32_sdwa v24, v37, s50 dst_sel:DWORD dst_unused:UNUSED_PAD src0_sel:BYTE_3 src1_sel:DWORD
                                        ; implicit-def: $vgpr37
; %bb.419:                              ;   in Loop: Header=BB4_350 Depth=3
	s_andn2_saveexec_b64 s[74:75], s[74:75]
; %bb.420:                              ;   in Loop: Header=BB4_350 Depth=3
	v_cmp_lt_i32_e32 vcc, -1, v37
	v_cndmask_b32_e32 v24, v49, v11, vcc
; %bb.421:                              ;   in Loop: Header=BB4_350 Depth=3
	s_or_b64 exec, exec, s[74:75]
.LBB4_422:                              ;   in Loop: Header=BB4_350 Depth=3
	s_or_b64 exec, exec, s[18:19]
	v_and_b32_sdwa v28, v2, s37 dst_sel:DWORD dst_unused:UNUSED_PAD src0_sel:WORD_1 src1_sel:DWORD
	v_lshrrev_b32_e32 v27, 16, v2
	v_cmp_ne_u16_e32 vcc, 0, v28
	v_mov_b32_e32 v0, 0
	s_and_saveexec_b64 s[18:19], vcc
	s_cbranch_execz .LBB4_430
; %bb.423:                              ;   in Loop: Header=BB4_350 Depth=3
	v_cmp_ne_u16_e32 vcc, s48, v28
	v_bfrev_b32_e32 v0, 1
	s_and_saveexec_b64 s[74:75], vcc
	s_cbranch_execz .LBB4_429
; %bb.424:                              ;   in Loop: Header=BB4_350 Depth=3
	v_and_b32_e32 v0, 0x7c0000, v2
	v_bfe_u32 v28, v2, 16, 2
	v_cmp_ne_u32_e32 vcc, s51, v0
                                        ; implicit-def: $vgpr0
	s_and_saveexec_b64 s[76:77], vcc
	s_xor_b64 s[76:77], exec, s[76:77]
	s_cbranch_execz .LBB4_426
; %bb.425:                              ;   in Loop: Header=BB4_350 Depth=3
	v_ffbh_u32_e32 v37, v28
	v_min_u32_e32 v39, 32, v37
	v_lshrrev_b32_e32 v0, 16, v2
	v_subrev_u32_e32 v37, 29, v39
	v_lshlrev_b64 v[37:38], v37, v[0:1]
	v_bfe_u32 v27, v2, 18, 5
	v_sub_u32_e32 v0, 30, v39
	v_and_b32_e32 v37, 3, v37
	v_cmp_eq_u32_e32 vcc, 0, v27
	v_cndmask_b32_e32 v0, v27, v0, vcc
	v_cndmask_b32_e32 v27, v28, v37, vcc
	v_lshlrev_b32_e32 v28, 8, v2
	v_and_b32_e32 v28, 0x80000000, v28
	v_lshl_add_u32 v0, v0, 23, v28
	v_lshl_or_b32 v0, v27, 21, v0
	v_add_u32_e32 v0, 0x38000000, v0
                                        ; implicit-def: $vgpr28
                                        ; implicit-def: $vgpr27
.LBB4_426:                              ;   in Loop: Header=BB4_350 Depth=3
	s_andn2_saveexec_b64 s[76:77], s[76:77]
; %bb.427:                              ;   in Loop: Header=BB4_350 Depth=3
	v_cmp_gt_i16_sdwa vcc, sext(v27), v7 src0_sel:BYTE_0 src1_sel:DWORD
	v_cndmask_b32_e32 v0, v8, v54, vcc
	v_cmp_eq_u32_e32 vcc, 0, v28
	v_cndmask_b32_e32 v0, v55, v0, vcc
; %bb.428:                              ;   in Loop: Header=BB4_350 Depth=3
	s_or_b64 exec, exec, s[76:77]
.LBB4_429:                              ;   in Loop: Header=BB4_350 Depth=3
	s_or_b64 exec, exec, s[74:75]
.LBB4_430:                              ;   in Loop: Header=BB4_350 Depth=3
	s_or_b64 exec, exec, s[18:19]
	v_mul_f32_e32 v42, v62, v0
	v_and_b32_e32 v37, 0x7f800000, v42
	v_mov_b32_e32 v38, v3
	v_cmp_ne_u64_e32 vcc, s[56:57], v[37:38]
	v_and_b32_e32 v27, 0x7fffff, v42
	v_mov_b32_e32 v28, v3
                                        ; implicit-def: $vgpr37
	s_and_saveexec_b64 s[18:19], vcc
	s_xor_b64 s[74:75], exec, s[18:19]
	s_cbranch_execz .LBB4_444
; %bb.431:                              ;   in Loop: Header=BB4_350 Depth=3
	v_and_b32_e32 v37, 0x7fffffff, v42
	v_mov_b32_e32 v38, v3
	v_cmp_gt_u64_e32 vcc, s[58:59], v[37:38]
	v_and_b32_sdwa v0, v42, s48 dst_sel:DWORD dst_unused:UNUSED_PAD src0_sel:BYTE_3 src1_sel:DWORD
                                        ; implicit-def: $vgpr37
	s_and_saveexec_b64 s[18:19], vcc
	s_xor_b64 s[76:77], exec, s[18:19]
	s_cbranch_execz .LBB4_441
; %bb.432:                              ;   in Loop: Header=BB4_350 Depth=3
	v_mov_b32_e32 v37, 0
	v_cmp_ne_u32_e32 vcc, 0, v42
	s_and_saveexec_b64 s[78:79], vcc
	s_cbranch_execz .LBB4_440
; %bb.433:                              ;   in Loop: Header=BB4_350 Depth=3
	v_bfe_u32 v37, v42, 23, 8
	v_cmp_gt_u32_e64 s[18:19], s49, v37
	v_sub_u32_e32 v38, 0x71, v37
	v_cmp_eq_u32_e32 vcc, 0, v37
	v_cndmask_b32_e64 v38, 0, v38, s[18:19]
	v_cndmask_b32_e32 v56, v38, v12, vcc
	v_or_b32_e32 v39, 0x800000, v27
	v_add_u32_e32 v38, 21, v56
	v_cndmask_b32_e32 v27, v39, v27, vcc
	v_lshlrev_b64 v[38:39], v38, -1
	v_add_u32_e32 v42, 20, v56
	v_bfi_b32 v38, v38, 0, v27
	v_lshlrev_b64 v[42:43], v42, 1
	v_lshrrev_b64 v[27:28], v56, v[27:28]
	v_bfi_b32 v39, v39, 0, 0
	v_cmp_eq_u64_e64 s[18:19], v[38:39], v[42:43]
	v_mov_b32_e32 v43, v28
	v_mov_b32_e32 v42, v27
	s_and_saveexec_b64 s[88:89], s[18:19]
; %bb.434:                              ;   in Loop: Header=BB4_350 Depth=3
	v_bfe_u32 v28, v27, 21, 1
	v_add_co_u32_e64 v28, s[18:19], v27, v28
	v_add_co_u32_e64 v42, s[18:19], -1, v28
; %bb.435:                              ;   in Loop: Header=BB4_350 Depth=3
	s_or_b64 exec, exec, s[88:89]
	v_add_u32_e32 v28, 0xffffff81, v37
	v_cndmask_b32_e32 v28, v28, v48, vcc
	v_lshrrev_b32_e32 v37, 23, v27
	v_add3_u32 v39, v56, v28, v37
	v_add_u32_e32 v38, 14, v39
	v_and_b32_e32 v28, 0x1fffff, v42
	v_add_u32_e32 v27, v28, v27
	v_mov_b32_e32 v28, v3
	v_cmp_ne_u32_e32 vcc, 0, v38
                                        ; implicit-def: $vgpr37
	s_and_saveexec_b64 s[18:19], vcc
	s_xor_b64 s[18:19], exec, s[18:19]
; %bb.436:                              ;   in Loop: Header=BB4_350 Depth=3
	v_cmp_lt_u64_e32 vcc, s[60:61], v[27:28]
	v_add_u32_e32 v37, 15, v39
	v_cndmask_b32_e32 v37, v38, v37, vcc
	v_cndmask_b32_e64 v38, 0, 1, vcc
	v_lshrrev_b64 v[27:28], v38, v[27:28]
; %bb.437:                              ;   in Loop: Header=BB4_350 Depth=3
	s_andn2_saveexec_b64 s[18:19], s[18:19]
; %bb.438:                              ;   in Loop: Header=BB4_350 Depth=3
	v_bfe_u32 v37, v27, 23, 1
; %bb.439:                              ;   in Loop: Header=BB4_350 Depth=3
	s_or_b64 exec, exec, s[18:19]
	v_lshrrev_b64 v[27:28], 21, v[27:28]
	v_cmp_gt_i32_e32 vcc, 32, v37
	v_cndmask_b32_e32 v28, 0, v28, vcc
	v_cndmask_b32_e32 v27, 3, v27, vcc
	v_cmp_eq_u64_e64 s[18:19], 0, v[27:28]
	v_min_i32_e32 v28, 31, v37
	v_lshlrev_b32_e32 v28, 2, v28
	v_cmp_eq_u32_e32 vcc, 0, v37
	v_and_b32_e32 v28, 0xfc, v28
	v_and_or_b32 v27, v27, 3, v28
	s_and_b64 s[18:19], vcc, s[18:19]
	v_cndmask_b32_e64 v27, v27, 0, s[18:19]
	v_or_b32_e32 v37, v27, v0
.LBB4_440:                              ;   in Loop: Header=BB4_350 Depth=3
	s_or_b64 exec, exec, s[78:79]
                                        ; implicit-def: $vgpr0
.LBB4_441:                              ;   in Loop: Header=BB4_350 Depth=3
	s_andn2_saveexec_b64 s[18:19], s[76:77]
; %bb.442:                              ;   in Loop: Header=BB4_350 Depth=3
	v_or_b32_e32 v37, 0x7b, v0
; %bb.443:                              ;   in Loop: Header=BB4_350 Depth=3
	s_or_b64 exec, exec, s[18:19]
                                        ; implicit-def: $vgpr42
                                        ; implicit-def: $vgpr27_vgpr28
.LBB4_444:                              ;   in Loop: Header=BB4_350 Depth=3
	s_andn2_saveexec_b64 s[18:19], s[74:75]
	s_cbranch_execz .LBB4_450
; %bb.445:                              ;   in Loop: Header=BB4_350 Depth=3
	v_cmp_ne_u64_e32 vcc, 0, v[27:28]
                                        ; implicit-def: $vgpr37
	s_and_saveexec_b64 s[74:75], vcc
	s_xor_b64 s[74:75], exec, s[74:75]
; %bb.446:                              ;   in Loop: Header=BB4_350 Depth=3
	v_or_b32_sdwa v37, v42, s50 dst_sel:DWORD dst_unused:UNUSED_PAD src0_sel:BYTE_3 src1_sel:DWORD
                                        ; implicit-def: $vgpr42
; %bb.447:                              ;   in Loop: Header=BB4_350 Depth=3
	s_andn2_saveexec_b64 s[74:75], s[74:75]
; %bb.448:                              ;   in Loop: Header=BB4_350 Depth=3
	v_cmp_lt_i32_e32 vcc, -1, v42
	v_cndmask_b32_e32 v37, v49, v11, vcc
; %bb.449:                              ;   in Loop: Header=BB4_350 Depth=3
	s_or_b64 exec, exec, s[74:75]
.LBB4_450:                              ;   in Loop: Header=BB4_350 Depth=3
	s_or_b64 exec, exec, s[18:19]
	v_cmp_lt_u32_e32 vcc, s47, v2
	v_mov_b32_e32 v27, 0
	s_and_saveexec_b64 s[18:19], vcc
	s_cbranch_execz .LBB4_458
; %bb.451:                              ;   in Loop: Header=BB4_350 Depth=3
	v_lshrrev_b32_e32 v0, 24, v2
	v_cmp_ne_u32_e32 vcc, s48, v0
	v_bfrev_b32_e32 v27, 1
	s_and_saveexec_b64 s[74:75], vcc
	s_cbranch_execz .LBB4_457
; %bb.452:                              ;   in Loop: Header=BB4_350 Depth=3
	v_and_b32_e32 v27, 0x7c000000, v2
	v_bfe_u32 v28, v2, 24, 2
	v_cmp_ne_u32_e32 vcc, s52, v27
                                        ; implicit-def: $vgpr27
	s_and_saveexec_b64 s[76:77], vcc
	s_xor_b64 s[76:77], exec, s[76:77]
	s_cbranch_execz .LBB4_454
; %bb.453:                              ;   in Loop: Header=BB4_350 Depth=3
	v_ffbh_u32_e32 v38, v28
	v_min_u32_e32 v42, 32, v38
	v_subrev_u32_e32 v38, 29, v42
	v_bfe_u32 v27, v2, 26, 5
	v_lshlrev_b64 v[38:39], v38, v[0:1]
	v_sub_u32_e32 v0, 30, v42
	v_cmp_eq_u32_e32 vcc, 0, v27
	v_and_b32_e32 v38, 3, v38
	v_cndmask_b32_e32 v0, v27, v0, vcc
	v_and_b32_e32 v2, 0x80000000, v2
	v_cndmask_b32_e32 v27, v28, v38, vcc
	v_lshl_add_u32 v0, v0, 23, v2
	v_lshl_or_b32 v0, v27, 21, v0
	v_add_u32_e32 v27, 0x38000000, v0
                                        ; implicit-def: $vgpr28
.LBB4_454:                              ;   in Loop: Header=BB4_350 Depth=3
	s_andn2_saveexec_b64 s[76:77], s[76:77]
; %bb.455:                              ;   in Loop: Header=BB4_350 Depth=3
	v_cmp_lt_i32_e32 vcc, -1, v2
	v_cndmask_b32_e32 v0, v8, v54, vcc
	v_cmp_eq_u32_e32 vcc, 0, v28
	v_cndmask_b32_e32 v27, v55, v0, vcc
; %bb.456:                              ;   in Loop: Header=BB4_350 Depth=3
	s_or_b64 exec, exec, s[76:77]
.LBB4_457:                              ;   in Loop: Header=BB4_350 Depth=3
	s_or_b64 exec, exec, s[74:75]
.LBB4_458:                              ;   in Loop: Header=BB4_350 Depth=3
	s_or_b64 exec, exec, s[18:19]
	v_mul_f32_e32 v27, v62, v27
	v_and_b32_e32 v38, 0x7f800000, v27
	v_mov_b32_e32 v39, v3
	v_cmp_ne_u64_e32 vcc, s[56:57], v[38:39]
	v_and_b32_e32 v2, 0x7fffff, v27
                                        ; implicit-def: $vgpr56
	s_and_saveexec_b64 s[18:19], vcc
	s_xor_b64 s[74:75], exec, s[18:19]
	s_cbranch_execz .LBB4_472
; %bb.459:                              ;   in Loop: Header=BB4_350 Depth=3
	v_and_b32_e32 v38, 0x7fffffff, v27
	v_mov_b32_e32 v39, v3
	v_cmp_gt_u64_e32 vcc, s[58:59], v[38:39]
	v_and_b32_sdwa v0, v27, s48 dst_sel:DWORD dst_unused:UNUSED_PAD src0_sel:BYTE_3 src1_sel:DWORD
                                        ; implicit-def: $vgpr56
	s_and_saveexec_b64 s[18:19], vcc
	s_xor_b64 s[76:77], exec, s[18:19]
	s_cbranch_execz .LBB4_469
; %bb.460:                              ;   in Loop: Header=BB4_350 Depth=3
	v_mov_b32_e32 v56, 0
	v_cmp_ne_u32_e32 vcc, 0, v27
	s_and_saveexec_b64 s[78:79], vcc
	s_cbranch_execz .LBB4_468
; %bb.461:                              ;   in Loop: Header=BB4_350 Depth=3
	v_bfe_u32 v56, v27, 23, 8
	v_cmp_gt_u32_e64 s[18:19], s49, v56
	v_sub_u32_e32 v27, 0x71, v56
	v_cmp_eq_u32_e32 vcc, 0, v56
	v_cndmask_b32_e64 v27, 0, v27, s[18:19]
	v_cndmask_b32_e32 v59, v27, v12, vcc
	v_or_b32_e32 v28, 0x800000, v2
	v_add_u32_e32 v27, 21, v59
	v_cndmask_b32_e32 v2, v28, v2, vcc
	v_lshlrev_b64 v[27:28], v27, -1
	v_add_u32_e32 v38, 20, v59
	v_lshlrev_b64 v[38:39], v38, 1
	v_bfi_b32 v28, v28, 0, 0
	v_bfi_b32 v27, v27, 0, v2
	v_cmp_eq_u64_e64 s[18:19], v[27:28], v[38:39]
	v_lshrrev_b64 v[27:28], v59, v[2:3]
	v_mov_b32_e32 v43, v28
	v_mov_b32_e32 v42, v27
	s_and_saveexec_b64 s[88:89], s[18:19]
; %bb.462:                              ;   in Loop: Header=BB4_350 Depth=3
	v_bfe_u32 v2, v27, 21, 1
	v_add_co_u32_e64 v2, s[18:19], v27, v2
	v_add_co_u32_e64 v42, s[18:19], -1, v2
; %bb.463:                              ;   in Loop: Header=BB4_350 Depth=3
	s_or_b64 exec, exec, s[88:89]
	v_add_u32_e32 v2, 0xffffff81, v56
	v_cndmask_b32_e32 v2, v2, v48, vcc
	v_lshrrev_b32_e32 v28, 23, v27
	v_add3_u32 v39, v59, v2, v28
	v_add_u32_e32 v38, 14, v39
	v_and_b32_e32 v2, 0x1fffff, v42
	v_add_u32_e32 v2, v2, v27
	v_cmp_ne_u32_e32 vcc, 0, v38
                                        ; implicit-def: $vgpr27_vgpr28
                                        ; implicit-def: $vgpr42
	s_and_saveexec_b64 s[18:19], vcc
	s_xor_b64 s[18:19], exec, s[18:19]
; %bb.464:                              ;   in Loop: Header=BB4_350 Depth=3
	v_cmp_lt_u64_e32 vcc, s[60:61], v[2:3]
	v_add_u32_e32 v27, 15, v39
	v_cndmask_b32_e32 v42, v38, v27, vcc
	v_cndmask_b32_e64 v27, 0, 1, vcc
	v_lshrrev_b64 v[27:28], v27, v[2:3]
; %bb.465:                              ;   in Loop: Header=BB4_350 Depth=3
	s_andn2_saveexec_b64 s[18:19], s[18:19]
; %bb.466:                              ;   in Loop: Header=BB4_350 Depth=3
	v_mov_b32_e32 v28, v3
	v_bfe_u32 v42, v2, 23, 1
	v_mov_b32_e32 v27, v2
; %bb.467:                              ;   in Loop: Header=BB4_350 Depth=3
	s_or_b64 exec, exec, s[18:19]
	v_lshrrev_b64 v[27:28], 21, v[27:28]
	v_cmp_gt_i32_e32 vcc, 32, v42
	v_cndmask_b32_e32 v28, 0, v28, vcc
	v_cndmask_b32_e32 v27, 3, v27, vcc
	v_min_i32_e32 v2, 31, v42
	v_cmp_eq_u64_e64 s[18:19], 0, v[27:28]
	v_lshlrev_b32_e32 v2, 2, v2
	v_cmp_eq_u32_e32 vcc, 0, v42
	v_and_b32_e32 v2, 0xfc, v2
	v_and_or_b32 v2, v27, 3, v2
	s_and_b64 s[18:19], vcc, s[18:19]
	v_cndmask_b32_e64 v2, v2, 0, s[18:19]
	v_or_b32_e32 v56, v2, v0
.LBB4_468:                              ;   in Loop: Header=BB4_350 Depth=3
	s_or_b64 exec, exec, s[78:79]
                                        ; implicit-def: $vgpr0
.LBB4_469:                              ;   in Loop: Header=BB4_350 Depth=3
	s_andn2_saveexec_b64 s[18:19], s[76:77]
; %bb.470:                              ;   in Loop: Header=BB4_350 Depth=3
	v_or_b32_e32 v56, 0x7b, v0
; %bb.471:                              ;   in Loop: Header=BB4_350 Depth=3
	s_or_b64 exec, exec, s[18:19]
                                        ; implicit-def: $vgpr27
.LBB4_472:                              ;   in Loop: Header=BB4_350 Depth=3
	s_andn2_saveexec_b64 s[18:19], s[74:75]
	s_cbranch_execz .LBB4_478
; %bb.473:                              ;   in Loop: Header=BB4_350 Depth=3
	v_cmp_ne_u64_e32 vcc, 0, v[2:3]
                                        ; implicit-def: $vgpr56
	s_and_saveexec_b64 s[74:75], vcc
	s_xor_b64 s[74:75], exec, s[74:75]
; %bb.474:                              ;   in Loop: Header=BB4_350 Depth=3
	v_or_b32_sdwa v56, v27, s50 dst_sel:DWORD dst_unused:UNUSED_PAD src0_sel:BYTE_3 src1_sel:DWORD
                                        ; implicit-def: $vgpr27
; %bb.475:                              ;   in Loop: Header=BB4_350 Depth=3
	s_andn2_saveexec_b64 s[74:75], s[74:75]
; %bb.476:                              ;   in Loop: Header=BB4_350 Depth=3
	v_cmp_lt_i32_e32 vcc, -1, v27
	v_cndmask_b32_e32 v56, v49, v11, vcc
; %bb.477:                              ;   in Loop: Header=BB4_350 Depth=3
	s_or_b64 exec, exec, s[74:75]
.LBB4_478:                              ;   in Loop: Header=BB4_350 Depth=3
	s_or_b64 exec, exec, s[18:19]
	v_alignbit_b32 v2, v23, v36, v57
	v_cmp_ne_u16_sdwa s[74:75], v2, v3 src0_sel:BYTE_0 src1_sel:DWORD
	v_mov_b32_e32 v0, 0
	s_and_saveexec_b64 s[18:19], s[74:75]
	s_cbranch_execz .LBB4_486
; %bb.479:                              ;   in Loop: Header=BB4_350 Depth=3
	v_cmp_ne_u16_sdwa s[76:77], sext(v2), s38 src0_sel:BYTE_0 src1_sel:DWORD
	v_bfrev_b32_e32 v0, 1
	s_and_saveexec_b64 s[74:75], s[76:77]
	s_cbranch_execz .LBB4_485
; %bb.480:                              ;   in Loop: Header=BB4_350 Depth=3
	v_and_b32_e32 v0, 0x7c, v2
	v_and_b32_e32 v23, 3, v2
	v_cmp_ne_u32_e32 vcc, s39, v0
                                        ; implicit-def: $vgpr0
	s_and_saveexec_b64 s[76:77], vcc
	s_xor_b64 s[76:77], exec, s[76:77]
	s_cbranch_execz .LBB4_482
; %bb.481:                              ;   in Loop: Header=BB4_350 Depth=3
	v_ffbh_u32_e32 v27, v23
	v_min_u32_e32 v36, 32, v27
	v_subrev_u32_e32 v27, 29, v36
	v_lshlrev_b64 v[27:28], v27, v[2:3]
	v_bfe_u32 v0, v2, 2, 5
	v_and_b32_e32 v27, 3, v27
	v_cmp_eq_u32_e32 vcc, 0, v0
	v_sub_u32_e32 v28, 30, v36
	v_cndmask_b32_e32 v23, v23, v27, vcc
	v_lshlrev_b32_e32 v27, 24, v2
	v_cndmask_b32_e32 v0, v0, v28, vcc
	v_and_b32_e32 v27, 0x80000000, v27
	v_lshl_add_u32 v0, v0, 23, v27
	v_lshl_or_b32 v0, v23, 21, v0
	v_add_u32_e32 v0, 0x38000000, v0
                                        ; implicit-def: $vgpr23
.LBB4_482:                              ;   in Loop: Header=BB4_350 Depth=3
	s_andn2_saveexec_b64 s[76:77], s[76:77]
; %bb.483:                              ;   in Loop: Header=BB4_350 Depth=3
	v_cmp_gt_i16_sdwa vcc, sext(v2), v7 src0_sel:BYTE_0 src1_sel:DWORD
	v_cndmask_b32_e32 v0, v8, v54, vcc
	v_cmp_eq_u32_e32 vcc, 0, v23
	v_cndmask_b32_e32 v0, v55, v0, vcc
; %bb.484:                              ;   in Loop: Header=BB4_350 Depth=3
	s_or_b64 exec, exec, s[76:77]
.LBB4_485:                              ;   in Loop: Header=BB4_350 Depth=3
	s_or_b64 exec, exec, s[74:75]
.LBB4_486:                              ;   in Loop: Header=BB4_350 Depth=3
	s_or_b64 exec, exec, s[18:19]
	v_mul_f32_e32 v23, v62, v0
	v_and_b32_e32 v38, 0x7f800000, v23
	v_mov_b32_e32 v39, v3
	v_cmp_ne_u64_e32 vcc, s[56:57], v[38:39]
	v_and_b32_e32 v27, 0x7fffff, v23
	v_mov_b32_e32 v28, v3
                                        ; implicit-def: $vgpr59
	s_and_saveexec_b64 s[18:19], vcc
	s_xor_b64 s[74:75], exec, s[18:19]
	s_cbranch_execz .LBB4_500
; %bb.487:                              ;   in Loop: Header=BB4_350 Depth=3
	v_and_b32_e32 v38, 0x7fffffff, v23
	v_mov_b32_e32 v39, v3
	v_cmp_gt_u64_e32 vcc, s[58:59], v[38:39]
	v_and_b32_sdwa v0, v23, s48 dst_sel:DWORD dst_unused:UNUSED_PAD src0_sel:BYTE_3 src1_sel:DWORD
                                        ; implicit-def: $vgpr59
	s_and_saveexec_b64 s[18:19], vcc
	s_xor_b64 s[76:77], exec, s[18:19]
	s_cbranch_execz .LBB4_497
; %bb.488:                              ;   in Loop: Header=BB4_350 Depth=3
	v_mov_b32_e32 v59, 0
	v_cmp_ne_u32_e32 vcc, 0, v23
	s_and_saveexec_b64 s[78:79], vcc
	s_cbranch_execz .LBB4_496
; %bb.489:                              ;   in Loop: Header=BB4_350 Depth=3
	v_bfe_u32 v23, v23, 23, 8
	v_cmp_gt_u32_e64 s[18:19], s49, v23
	v_sub_u32_e32 v36, 0x71, v23
	v_cmp_eq_u32_e32 vcc, 0, v23
	v_cndmask_b32_e64 v36, 0, v36, s[18:19]
	v_or_b32_e32 v38, 0x800000, v27
	v_cndmask_b32_e32 v36, v36, v12, vcc
	v_cndmask_b32_e32 v27, v38, v27, vcc
	v_add_u32_e32 v38, 21, v36
	v_lshlrev_b64 v[38:39], v38, -1
	v_add_u32_e32 v42, 20, v36
	v_bfi_b32 v38, v38, 0, v27
	v_lshlrev_b64 v[42:43], v42, 1
	v_lshrrev_b64 v[27:28], v36, v[27:28]
	v_bfi_b32 v39, v39, 0, 0
	v_cmp_eq_u64_e64 s[18:19], v[38:39], v[42:43]
	v_mov_b32_e32 v43, v28
	v_mov_b32_e32 v42, v27
	s_and_saveexec_b64 s[88:89], s[18:19]
; %bb.490:                              ;   in Loop: Header=BB4_350 Depth=3
	v_bfe_u32 v28, v27, 21, 1
	v_add_co_u32_e64 v28, s[18:19], v27, v28
	v_add_co_u32_e64 v42, s[18:19], -1, v28
; %bb.491:                              ;   in Loop: Header=BB4_350 Depth=3
	s_or_b64 exec, exec, s[88:89]
	v_add_u32_e32 v23, 0xffffff81, v23
	v_cndmask_b32_e32 v23, v23, v48, vcc
	v_lshrrev_b32_e32 v28, 23, v27
	v_add3_u32 v38, v36, v23, v28
	v_add_u32_e32 v36, 14, v38
	v_and_b32_e32 v23, 0x1fffff, v42
	v_add_u32_e32 v27, v23, v27
	v_mov_b32_e32 v28, v3
	v_cmp_ne_u32_e32 vcc, 0, v36
                                        ; implicit-def: $vgpr23
	s_and_saveexec_b64 s[18:19], vcc
	s_xor_b64 s[18:19], exec, s[18:19]
; %bb.492:                              ;   in Loop: Header=BB4_350 Depth=3
	v_cmp_lt_u64_e32 vcc, s[60:61], v[27:28]
	v_add_u32_e32 v23, 15, v38
	v_cndmask_b32_e32 v23, v36, v23, vcc
	v_cndmask_b32_e64 v36, 0, 1, vcc
	v_lshrrev_b64 v[27:28], v36, v[27:28]
; %bb.493:                              ;   in Loop: Header=BB4_350 Depth=3
	s_andn2_saveexec_b64 s[18:19], s[18:19]
; %bb.494:                              ;   in Loop: Header=BB4_350 Depth=3
	v_bfe_u32 v23, v27, 23, 1
; %bb.495:                              ;   in Loop: Header=BB4_350 Depth=3
	s_or_b64 exec, exec, s[18:19]
	v_lshrrev_b64 v[27:28], 21, v[27:28]
	v_cmp_gt_i32_e32 vcc, 32, v23
	v_cndmask_b32_e32 v28, 0, v28, vcc
	v_cndmask_b32_e32 v27, 3, v27, vcc
	v_cmp_eq_u32_e32 vcc, 0, v23
	v_min_i32_e32 v23, 31, v23
	v_cmp_eq_u64_e64 s[18:19], 0, v[27:28]
	v_lshlrev_b32_e32 v23, 2, v23
	v_and_b32_e32 v23, 0xfc, v23
	v_and_or_b32 v23, v27, 3, v23
	s_and_b64 s[18:19], vcc, s[18:19]
	v_cndmask_b32_e64 v23, v23, 0, s[18:19]
	v_or_b32_e32 v59, v23, v0
.LBB4_496:                              ;   in Loop: Header=BB4_350 Depth=3
	s_or_b64 exec, exec, s[78:79]
                                        ; implicit-def: $vgpr0
.LBB4_497:                              ;   in Loop: Header=BB4_350 Depth=3
	s_andn2_saveexec_b64 s[18:19], s[76:77]
; %bb.498:                              ;   in Loop: Header=BB4_350 Depth=3
	v_or_b32_e32 v59, 0x7b, v0
; %bb.499:                              ;   in Loop: Header=BB4_350 Depth=3
	s_or_b64 exec, exec, s[18:19]
                                        ; implicit-def: $vgpr23
                                        ; implicit-def: $vgpr27_vgpr28
.LBB4_500:                              ;   in Loop: Header=BB4_350 Depth=3
	s_andn2_saveexec_b64 s[18:19], s[74:75]
	s_cbranch_execz .LBB4_506
; %bb.501:                              ;   in Loop: Header=BB4_350 Depth=3
	v_cmp_ne_u64_e32 vcc, 0, v[27:28]
                                        ; implicit-def: $vgpr59
	s_and_saveexec_b64 s[74:75], vcc
	s_xor_b64 s[74:75], exec, s[74:75]
; %bb.502:                              ;   in Loop: Header=BB4_350 Depth=3
	v_or_b32_sdwa v59, v23, s50 dst_sel:DWORD dst_unused:UNUSED_PAD src0_sel:BYTE_3 src1_sel:DWORD
                                        ; implicit-def: $vgpr23
; %bb.503:                              ;   in Loop: Header=BB4_350 Depth=3
	s_andn2_saveexec_b64 s[74:75], s[74:75]
; %bb.504:                              ;   in Loop: Header=BB4_350 Depth=3
	v_cmp_lt_i32_e32 vcc, -1, v23
	v_cndmask_b32_e32 v59, v49, v11, vcc
; %bb.505:                              ;   in Loop: Header=BB4_350 Depth=3
	s_or_b64 exec, exec, s[74:75]
.LBB4_506:                              ;   in Loop: Header=BB4_350 Depth=3
	s_or_b64 exec, exec, s[18:19]
	v_lshrrev_b16_e32 v27, 8, v2
	v_cmp_ne_u16_e32 vcc, 0, v27
	v_mov_b32_e32 v0, 0
	s_and_saveexec_b64 s[18:19], vcc
	s_cbranch_execz .LBB4_514
; %bb.507:                              ;   in Loop: Header=BB4_350 Depth=3
	v_cmp_ne_u16_e32 vcc, s48, v27
	v_bfrev_b32_e32 v0, 1
	s_and_saveexec_b64 s[74:75], vcc
	s_cbranch_execz .LBB4_513
; %bb.508:                              ;   in Loop: Header=BB4_350 Depth=3
	v_and_b32_e32 v0, 0x7c, v27
	v_and_b32_e32 v23, 3, v27
	v_cmp_ne_u32_e32 vcc, s39, v0
                                        ; implicit-def: $vgpr0
	s_and_saveexec_b64 s[76:77], vcc
	s_xor_b64 s[76:77], exec, s[76:77]
	s_cbranch_execz .LBB4_510
; %bb.509:                              ;   in Loop: Header=BB4_350 Depth=3
	v_ffbh_u32_e32 v36, v23
	v_min_u32_e32 v36, 32, v36
	v_mov_b32_e32 v28, v3
	v_subrev_u32_e32 v38, 29, v36
	v_bfe_u32 v0, v27, 2, 5
	v_lshlrev_b64 v[27:28], v38, v[27:28]
	v_cmp_eq_u32_e32 vcc, 0, v0
	v_and_b32_e32 v27, 3, v27
	v_sub_u32_e32 v28, 30, v36
	v_cndmask_b32_e32 v23, v23, v27, vcc
	v_lshlrev_b32_e32 v27, 16, v2
	v_cndmask_b32_e32 v0, v0, v28, vcc
	v_and_b32_e32 v27, 0x80000000, v27
	v_lshl_add_u32 v0, v0, 23, v27
	v_lshl_or_b32 v0, v23, 21, v0
	v_add_u32_e32 v0, 0x38000000, v0
                                        ; implicit-def: $vgpr23
.LBB4_510:                              ;   in Loop: Header=BB4_350 Depth=3
	s_andn2_saveexec_b64 s[76:77], s[76:77]
; %bb.511:                              ;   in Loop: Header=BB4_350 Depth=3
	v_cmp_lt_i16_e32 vcc, -1, v2
	v_cndmask_b32_e32 v0, v8, v54, vcc
	v_cmp_eq_u32_e32 vcc, 0, v23
	v_cndmask_b32_e32 v0, v55, v0, vcc
; %bb.512:                              ;   in Loop: Header=BB4_350 Depth=3
	s_or_b64 exec, exec, s[76:77]
.LBB4_513:                              ;   in Loop: Header=BB4_350 Depth=3
	s_or_b64 exec, exec, s[74:75]
.LBB4_514:                              ;   in Loop: Header=BB4_350 Depth=3
	s_or_b64 exec, exec, s[18:19]
	v_mul_f32_e32 v23, v62, v0
	v_and_b32_e32 v38, 0x7f800000, v23
	v_mov_b32_e32 v39, v3
	v_cmp_ne_u64_e32 vcc, s[56:57], v[38:39]
	v_and_b32_e32 v27, 0x7fffff, v23
	v_mov_b32_e32 v28, v3
                                        ; implicit-def: $vgpr57
	s_and_saveexec_b64 s[18:19], vcc
	s_xor_b64 s[74:75], exec, s[18:19]
	s_cbranch_execz .LBB4_528
; %bb.515:                              ;   in Loop: Header=BB4_350 Depth=3
	v_and_b32_e32 v38, 0x7fffffff, v23
	v_mov_b32_e32 v39, v3
	v_cmp_gt_u64_e32 vcc, s[58:59], v[38:39]
	v_and_b32_sdwa v0, v23, s48 dst_sel:DWORD dst_unused:UNUSED_PAD src0_sel:BYTE_3 src1_sel:DWORD
                                        ; implicit-def: $vgpr57
	s_and_saveexec_b64 s[18:19], vcc
	s_xor_b64 s[76:77], exec, s[18:19]
	s_cbranch_execz .LBB4_525
; %bb.516:                              ;   in Loop: Header=BB4_350 Depth=3
	v_mov_b32_e32 v57, 0
	v_cmp_ne_u32_e32 vcc, 0, v23
	s_and_saveexec_b64 s[78:79], vcc
	s_cbranch_execz .LBB4_524
; %bb.517:                              ;   in Loop: Header=BB4_350 Depth=3
	v_bfe_u32 v23, v23, 23, 8
	v_cmp_gt_u32_e64 s[18:19], s49, v23
	v_sub_u32_e32 v36, 0x71, v23
	v_cmp_eq_u32_e32 vcc, 0, v23
	v_cndmask_b32_e64 v36, 0, v36, s[18:19]
	v_or_b32_e32 v38, 0x800000, v27
	v_cndmask_b32_e32 v36, v36, v12, vcc
	v_cndmask_b32_e32 v27, v38, v27, vcc
	v_add_u32_e32 v38, 21, v36
	v_lshlrev_b64 v[38:39], v38, -1
	v_add_u32_e32 v42, 20, v36
	v_bfi_b32 v38, v38, 0, v27
	v_lshlrev_b64 v[42:43], v42, 1
	v_lshrrev_b64 v[27:28], v36, v[27:28]
	v_bfi_b32 v39, v39, 0, 0
	v_cmp_eq_u64_e64 s[18:19], v[38:39], v[42:43]
	v_mov_b32_e32 v43, v28
	v_mov_b32_e32 v42, v27
	s_and_saveexec_b64 s[88:89], s[18:19]
; %bb.518:                              ;   in Loop: Header=BB4_350 Depth=3
	v_bfe_u32 v28, v27, 21, 1
	v_add_co_u32_e64 v28, s[18:19], v27, v28
	v_add_co_u32_e64 v42, s[18:19], -1, v28
; %bb.519:                              ;   in Loop: Header=BB4_350 Depth=3
	s_or_b64 exec, exec, s[88:89]
	v_add_u32_e32 v23, 0xffffff81, v23
	v_cndmask_b32_e32 v23, v23, v48, vcc
	v_lshrrev_b32_e32 v28, 23, v27
	v_add3_u32 v38, v36, v23, v28
	v_add_u32_e32 v36, 14, v38
	v_and_b32_e32 v23, 0x1fffff, v42
	v_add_u32_e32 v27, v23, v27
	v_mov_b32_e32 v28, v3
	v_cmp_ne_u32_e32 vcc, 0, v36
                                        ; implicit-def: $vgpr23
	s_and_saveexec_b64 s[18:19], vcc
	s_xor_b64 s[18:19], exec, s[18:19]
; %bb.520:                              ;   in Loop: Header=BB4_350 Depth=3
	v_cmp_lt_u64_e32 vcc, s[60:61], v[27:28]
	v_add_u32_e32 v23, 15, v38
	v_cndmask_b32_e32 v23, v36, v23, vcc
	v_cndmask_b32_e64 v36, 0, 1, vcc
	v_lshrrev_b64 v[27:28], v36, v[27:28]
; %bb.521:                              ;   in Loop: Header=BB4_350 Depth=3
	s_andn2_saveexec_b64 s[18:19], s[18:19]
; %bb.522:                              ;   in Loop: Header=BB4_350 Depth=3
	v_bfe_u32 v23, v27, 23, 1
; %bb.523:                              ;   in Loop: Header=BB4_350 Depth=3
	s_or_b64 exec, exec, s[18:19]
	v_lshrrev_b64 v[27:28], 21, v[27:28]
	v_cmp_gt_i32_e32 vcc, 32, v23
	v_cndmask_b32_e32 v28, 0, v28, vcc
	v_cndmask_b32_e32 v27, 3, v27, vcc
	v_cmp_eq_u32_e32 vcc, 0, v23
	v_min_i32_e32 v23, 31, v23
	v_cmp_eq_u64_e64 s[18:19], 0, v[27:28]
	v_lshlrev_b32_e32 v23, 2, v23
	v_and_b32_e32 v23, 0xfc, v23
	v_and_or_b32 v23, v27, 3, v23
	s_and_b64 s[18:19], vcc, s[18:19]
	v_cndmask_b32_e64 v23, v23, 0, s[18:19]
	v_or_b32_e32 v57, v23, v0
.LBB4_524:                              ;   in Loop: Header=BB4_350 Depth=3
	s_or_b64 exec, exec, s[78:79]
                                        ; implicit-def: $vgpr0
.LBB4_525:                              ;   in Loop: Header=BB4_350 Depth=3
	s_andn2_saveexec_b64 s[18:19], s[76:77]
; %bb.526:                              ;   in Loop: Header=BB4_350 Depth=3
	v_or_b32_e32 v57, 0x7b, v0
; %bb.527:                              ;   in Loop: Header=BB4_350 Depth=3
	s_or_b64 exec, exec, s[18:19]
                                        ; implicit-def: $vgpr23
                                        ; implicit-def: $vgpr27_vgpr28
.LBB4_528:                              ;   in Loop: Header=BB4_350 Depth=3
	s_andn2_saveexec_b64 s[18:19], s[74:75]
	s_cbranch_execz .LBB4_534
; %bb.529:                              ;   in Loop: Header=BB4_350 Depth=3
	v_cmp_ne_u64_e32 vcc, 0, v[27:28]
                                        ; implicit-def: $vgpr57
	s_and_saveexec_b64 s[74:75], vcc
	s_xor_b64 s[74:75], exec, s[74:75]
; %bb.530:                              ;   in Loop: Header=BB4_350 Depth=3
	v_or_b32_sdwa v57, v23, s50 dst_sel:DWORD dst_unused:UNUSED_PAD src0_sel:BYTE_3 src1_sel:DWORD
                                        ; implicit-def: $vgpr23
; %bb.531:                              ;   in Loop: Header=BB4_350 Depth=3
	s_andn2_saveexec_b64 s[74:75], s[74:75]
; %bb.532:                              ;   in Loop: Header=BB4_350 Depth=3
	v_cmp_lt_i32_e32 vcc, -1, v23
	v_cndmask_b32_e32 v57, v49, v11, vcc
; %bb.533:                              ;   in Loop: Header=BB4_350 Depth=3
	s_or_b64 exec, exec, s[74:75]
.LBB4_534:                              ;   in Loop: Header=BB4_350 Depth=3
	s_or_b64 exec, exec, s[18:19]
	v_and_b32_sdwa v27, v2, s37 dst_sel:DWORD dst_unused:UNUSED_PAD src0_sel:WORD_1 src1_sel:DWORD
	v_lshrrev_b32_e32 v0, 16, v2
	v_cmp_ne_u16_e32 vcc, 0, v27
	v_mov_b32_e32 v23, 0
	s_and_saveexec_b64 s[18:19], vcc
	s_cbranch_execz .LBB4_542
; %bb.535:                              ;   in Loop: Header=BB4_350 Depth=3
	v_cmp_ne_u16_e32 vcc, s48, v27
	v_bfrev_b32_e32 v23, 1
	s_and_saveexec_b64 s[74:75], vcc
	s_cbranch_execz .LBB4_541
; %bb.536:                              ;   in Loop: Header=BB4_350 Depth=3
	v_and_b32_e32 v23, 0x7c0000, v2
	v_bfe_u32 v27, v2, 16, 2
	v_cmp_ne_u32_e32 vcc, s51, v23
                                        ; implicit-def: $vgpr23
	s_and_saveexec_b64 s[76:77], vcc
	s_xor_b64 s[76:77], exec, s[76:77]
	s_cbranch_execz .LBB4_538
; %bb.537:                              ;   in Loop: Header=BB4_350 Depth=3
	v_ffbh_u32_e32 v28, v27
	v_min_u32_e32 v28, 32, v28
	v_subrev_u32_e32 v36, 29, v28
	v_lshlrev_b64 v[38:39], v36, v[0:1]
	v_bfe_u32 v23, v2, 18, 5
	v_sub_u32_e32 v0, 30, v28
	v_and_b32_e32 v28, 3, v38
	v_cmp_eq_u32_e32 vcc, 0, v23
	v_cndmask_b32_e32 v0, v23, v0, vcc
	v_cndmask_b32_e32 v23, v27, v28, vcc
	v_lshlrev_b32_e32 v27, 8, v2
	v_and_b32_e32 v27, 0x80000000, v27
	v_lshl_add_u32 v0, v0, 23, v27
	v_lshl_or_b32 v0, v23, 21, v0
	v_add_u32_e32 v23, 0x38000000, v0
                                        ; implicit-def: $vgpr27
                                        ; implicit-def: $vgpr0
.LBB4_538:                              ;   in Loop: Header=BB4_350 Depth=3
	s_andn2_saveexec_b64 s[76:77], s[76:77]
; %bb.539:                              ;   in Loop: Header=BB4_350 Depth=3
	v_cmp_gt_i16_sdwa vcc, sext(v0), v7 src0_sel:BYTE_0 src1_sel:DWORD
	v_cndmask_b32_e32 v0, v8, v54, vcc
	v_cmp_eq_u32_e32 vcc, 0, v27
	v_cndmask_b32_e32 v23, v55, v0, vcc
; %bb.540:                              ;   in Loop: Header=BB4_350 Depth=3
	s_or_b64 exec, exec, s[76:77]
.LBB4_541:                              ;   in Loop: Header=BB4_350 Depth=3
	s_or_b64 exec, exec, s[74:75]
.LBB4_542:                              ;   in Loop: Header=BB4_350 Depth=3
	s_or_b64 exec, exec, s[18:19]
	v_mul_f32_e32 v36, v62, v23
	v_and_b32_e32 v38, 0x7f800000, v36
	v_mov_b32_e32 v39, v3
	v_cmp_ne_u64_e32 vcc, s[56:57], v[38:39]
	v_and_b32_e32 v27, 0x7fffff, v36
	v_mov_b32_e32 v28, v3
                                        ; implicit-def: $vgpr23
	s_and_saveexec_b64 s[18:19], vcc
	s_xor_b64 s[74:75], exec, s[18:19]
	s_cbranch_execz .LBB4_556
; %bb.543:                              ;   in Loop: Header=BB4_350 Depth=3
	v_and_b32_e32 v38, 0x7fffffff, v36
	v_mov_b32_e32 v39, v3
	v_cmp_gt_u64_e32 vcc, s[58:59], v[38:39]
	v_and_b32_sdwa v0, v36, s48 dst_sel:DWORD dst_unused:UNUSED_PAD src0_sel:BYTE_3 src1_sel:DWORD
                                        ; implicit-def: $vgpr23
	s_and_saveexec_b64 s[18:19], vcc
	s_xor_b64 s[76:77], exec, s[18:19]
	s_cbranch_execz .LBB4_553
; %bb.544:                              ;   in Loop: Header=BB4_350 Depth=3
	v_mov_b32_e32 v23, 0
	v_cmp_ne_u32_e32 vcc, 0, v36
	s_and_saveexec_b64 s[78:79], vcc
	s_cbranch_execz .LBB4_552
; %bb.545:                              ;   in Loop: Header=BB4_350 Depth=3
	v_bfe_u32 v23, v36, 23, 8
	v_cmp_gt_u32_e64 s[18:19], s49, v23
	v_sub_u32_e32 v36, 0x71, v23
	v_cmp_eq_u32_e32 vcc, 0, v23
	v_cndmask_b32_e64 v36, 0, v36, s[18:19]
	v_or_b32_e32 v38, 0x800000, v27
	v_cndmask_b32_e32 v36, v36, v12, vcc
	v_cndmask_b32_e32 v27, v38, v27, vcc
	v_add_u32_e32 v38, 21, v36
	v_lshlrev_b64 v[38:39], v38, -1
	v_add_u32_e32 v42, 20, v36
	v_bfi_b32 v38, v38, 0, v27
	v_lshlrev_b64 v[42:43], v42, 1
	v_lshrrev_b64 v[27:28], v36, v[27:28]
	v_bfi_b32 v39, v39, 0, 0
	v_cmp_eq_u64_e64 s[18:19], v[38:39], v[42:43]
	v_mov_b32_e32 v43, v28
	v_mov_b32_e32 v42, v27
	s_and_saveexec_b64 s[88:89], s[18:19]
; %bb.546:                              ;   in Loop: Header=BB4_350 Depth=3
	v_bfe_u32 v28, v27, 21, 1
	v_add_co_u32_e64 v28, s[18:19], v27, v28
	v_add_co_u32_e64 v42, s[18:19], -1, v28
; %bb.547:                              ;   in Loop: Header=BB4_350 Depth=3
	s_or_b64 exec, exec, s[88:89]
	v_add_u32_e32 v23, 0xffffff81, v23
	v_cndmask_b32_e32 v23, v23, v48, vcc
	v_lshrrev_b32_e32 v28, 23, v27
	v_add3_u32 v38, v36, v23, v28
	v_add_u32_e32 v36, 14, v38
	v_and_b32_e32 v23, 0x1fffff, v42
	v_add_u32_e32 v27, v23, v27
	v_mov_b32_e32 v28, v3
	v_cmp_ne_u32_e32 vcc, 0, v36
                                        ; implicit-def: $vgpr23
	s_and_saveexec_b64 s[18:19], vcc
	s_xor_b64 s[18:19], exec, s[18:19]
; %bb.548:                              ;   in Loop: Header=BB4_350 Depth=3
	v_cmp_lt_u64_e32 vcc, s[60:61], v[27:28]
	v_add_u32_e32 v23, 15, v38
	v_cndmask_b32_e32 v23, v36, v23, vcc
	v_cndmask_b32_e64 v36, 0, 1, vcc
	v_lshrrev_b64 v[27:28], v36, v[27:28]
; %bb.549:                              ;   in Loop: Header=BB4_350 Depth=3
	s_andn2_saveexec_b64 s[18:19], s[18:19]
; %bb.550:                              ;   in Loop: Header=BB4_350 Depth=3
	v_bfe_u32 v23, v27, 23, 1
; %bb.551:                              ;   in Loop: Header=BB4_350 Depth=3
	s_or_b64 exec, exec, s[18:19]
	v_lshrrev_b64 v[27:28], 21, v[27:28]
	v_cmp_gt_i32_e32 vcc, 32, v23
	v_cndmask_b32_e32 v28, 0, v28, vcc
	v_cndmask_b32_e32 v27, 3, v27, vcc
	v_cmp_eq_u32_e32 vcc, 0, v23
	v_min_i32_e32 v23, 31, v23
	v_cmp_eq_u64_e64 s[18:19], 0, v[27:28]
	v_lshlrev_b32_e32 v23, 2, v23
	v_and_b32_e32 v23, 0xfc, v23
	v_and_or_b32 v23, v27, 3, v23
	s_and_b64 s[18:19], vcc, s[18:19]
	v_cndmask_b32_e64 v23, v23, 0, s[18:19]
	v_or_b32_e32 v23, v23, v0
.LBB4_552:                              ;   in Loop: Header=BB4_350 Depth=3
	s_or_b64 exec, exec, s[78:79]
                                        ; implicit-def: $vgpr0
.LBB4_553:                              ;   in Loop: Header=BB4_350 Depth=3
	s_andn2_saveexec_b64 s[18:19], s[76:77]
; %bb.554:                              ;   in Loop: Header=BB4_350 Depth=3
	v_or_b32_e32 v23, 0x7b, v0
; %bb.555:                              ;   in Loop: Header=BB4_350 Depth=3
	s_or_b64 exec, exec, s[18:19]
                                        ; implicit-def: $vgpr36
                                        ; implicit-def: $vgpr27_vgpr28
.LBB4_556:                              ;   in Loop: Header=BB4_350 Depth=3
	s_andn2_saveexec_b64 s[18:19], s[74:75]
	s_cbranch_execz .LBB4_562
; %bb.557:                              ;   in Loop: Header=BB4_350 Depth=3
	v_cmp_ne_u64_e32 vcc, 0, v[27:28]
                                        ; implicit-def: $vgpr23
	s_and_saveexec_b64 s[74:75], vcc
	s_xor_b64 s[74:75], exec, s[74:75]
; %bb.558:                              ;   in Loop: Header=BB4_350 Depth=3
	v_or_b32_sdwa v23, v36, s50 dst_sel:DWORD dst_unused:UNUSED_PAD src0_sel:BYTE_3 src1_sel:DWORD
                                        ; implicit-def: $vgpr36
; %bb.559:                              ;   in Loop: Header=BB4_350 Depth=3
	s_andn2_saveexec_b64 s[74:75], s[74:75]
; %bb.560:                              ;   in Loop: Header=BB4_350 Depth=3
	v_cmp_lt_i32_e32 vcc, -1, v36
	v_cndmask_b32_e32 v23, v49, v11, vcc
; %bb.561:                              ;   in Loop: Header=BB4_350 Depth=3
	s_or_b64 exec, exec, s[74:75]
.LBB4_562:                              ;   in Loop: Header=BB4_350 Depth=3
	s_or_b64 exec, exec, s[18:19]
	v_cmp_lt_u32_e32 vcc, s47, v2
	v_mov_b32_e32 v27, 0
	s_and_saveexec_b64 s[18:19], vcc
	s_cbranch_execz .LBB4_570
; %bb.563:                              ;   in Loop: Header=BB4_350 Depth=3
	v_lshrrev_b32_e32 v0, 24, v2
	v_cmp_ne_u32_e32 vcc, s48, v0
	v_bfrev_b32_e32 v27, 1
	s_and_saveexec_b64 s[74:75], vcc
	s_cbranch_execz .LBB4_569
; %bb.564:                              ;   in Loop: Header=BB4_350 Depth=3
	v_and_b32_e32 v27, 0x7c000000, v2
	v_bfe_u32 v28, v2, 24, 2
	v_cmp_ne_u32_e32 vcc, s52, v27
                                        ; implicit-def: $vgpr27
	s_and_saveexec_b64 s[76:77], vcc
	s_xor_b64 s[76:77], exec, s[76:77]
	s_cbranch_execz .LBB4_566
; %bb.565:                              ;   in Loop: Header=BB4_350 Depth=3
	v_ffbh_u32_e32 v36, v28
	v_min_u32_e32 v36, 32, v36
	v_subrev_u32_e32 v38, 29, v36
	v_bfe_u32 v27, v2, 26, 5
	v_lshlrev_b64 v[38:39], v38, v[0:1]
	v_sub_u32_e32 v0, 30, v36
	v_cmp_eq_u32_e32 vcc, 0, v27
	v_and_b32_e32 v36, 3, v38
	v_cndmask_b32_e32 v0, v27, v0, vcc
	v_and_b32_e32 v2, 0x80000000, v2
	v_cndmask_b32_e32 v27, v28, v36, vcc
	v_lshl_add_u32 v0, v0, 23, v2
	v_lshl_or_b32 v0, v27, 21, v0
	v_add_u32_e32 v27, 0x38000000, v0
                                        ; implicit-def: $vgpr28
.LBB4_566:                              ;   in Loop: Header=BB4_350 Depth=3
	s_andn2_saveexec_b64 s[76:77], s[76:77]
; %bb.567:                              ;   in Loop: Header=BB4_350 Depth=3
	v_cmp_lt_i32_e32 vcc, -1, v2
	v_cndmask_b32_e32 v0, v8, v54, vcc
	v_cmp_eq_u32_e32 vcc, 0, v28
	v_cndmask_b32_e32 v27, v55, v0, vcc
; %bb.568:                              ;   in Loop: Header=BB4_350 Depth=3
	s_or_b64 exec, exec, s[76:77]
.LBB4_569:                              ;   in Loop: Header=BB4_350 Depth=3
	s_or_b64 exec, exec, s[74:75]
.LBB4_570:                              ;   in Loop: Header=BB4_350 Depth=3
	s_or_b64 exec, exec, s[18:19]
	v_mul_f32_e32 v27, v62, v27
	v_and_b32_e32 v38, 0x7f800000, v27
	v_mov_b32_e32 v39, v3
	v_cmp_ne_u64_e32 vcc, s[56:57], v[38:39]
	v_and_b32_e32 v2, 0x7fffff, v27
                                        ; implicit-def: $vgpr36
	s_and_saveexec_b64 s[18:19], vcc
	s_xor_b64 s[74:75], exec, s[18:19]
	s_cbranch_execz .LBB4_584
; %bb.571:                              ;   in Loop: Header=BB4_350 Depth=3
	v_and_b32_e32 v38, 0x7fffffff, v27
	v_mov_b32_e32 v39, v3
	v_cmp_gt_u64_e32 vcc, s[58:59], v[38:39]
	v_and_b32_sdwa v0, v27, s48 dst_sel:DWORD dst_unused:UNUSED_PAD src0_sel:BYTE_3 src1_sel:DWORD
                                        ; implicit-def: $vgpr36
	s_and_saveexec_b64 s[18:19], vcc
	s_xor_b64 s[76:77], exec, s[18:19]
	s_cbranch_execz .LBB4_581
; %bb.572:                              ;   in Loop: Header=BB4_350 Depth=3
	v_mov_b32_e32 v36, 0
	v_cmp_ne_u32_e32 vcc, 0, v27
	s_and_saveexec_b64 s[78:79], vcc
	s_cbranch_execz .LBB4_580
; %bb.573:                              ;   in Loop: Header=BB4_350 Depth=3
	v_bfe_u32 v36, v27, 23, 8
	v_cmp_gt_u32_e64 s[18:19], s49, v36
	v_sub_u32_e32 v27, 0x71, v36
	v_cmp_eq_u32_e32 vcc, 0, v36
	v_cndmask_b32_e64 v27, 0, v27, s[18:19]
	v_cndmask_b32_e32 v38, v27, v12, vcc
	v_or_b32_e32 v28, 0x800000, v2
	v_add_u32_e32 v27, 21, v38
	v_cndmask_b32_e32 v2, v28, v2, vcc
	v_lshlrev_b64 v[27:28], v27, -1
	v_add_u32_e32 v39, 20, v38
	v_lshlrev_b64 v[42:43], v39, 1
	v_bfi_b32 v28, v28, 0, 0
	v_bfi_b32 v27, v27, 0, v2
	v_cmp_eq_u64_e64 s[18:19], v[27:28], v[42:43]
	v_lshrrev_b64 v[27:28], v38, v[2:3]
	v_mov_b32_e32 v43, v28
	v_mov_b32_e32 v42, v27
	s_and_saveexec_b64 s[88:89], s[18:19]
; %bb.574:                              ;   in Loop: Header=BB4_350 Depth=3
	v_bfe_u32 v2, v27, 21, 1
	v_add_co_u32_e64 v2, s[18:19], v27, v2
	v_add_co_u32_e64 v42, s[18:19], -1, v2
; %bb.575:                              ;   in Loop: Header=BB4_350 Depth=3
	s_or_b64 exec, exec, s[88:89]
	v_add_u32_e32 v2, 0xffffff81, v36
	v_cndmask_b32_e32 v2, v2, v48, vcc
	v_lshrrev_b32_e32 v28, 23, v27
	v_add3_u32 v39, v38, v2, v28
	v_add_u32_e32 v38, 14, v39
	v_and_b32_e32 v2, 0x1fffff, v42
	v_add_u32_e32 v2, v2, v27
	v_cmp_ne_u32_e32 vcc, 0, v38
                                        ; implicit-def: $vgpr27_vgpr28
                                        ; implicit-def: $vgpr36
	s_and_saveexec_b64 s[18:19], vcc
	s_xor_b64 s[18:19], exec, s[18:19]
; %bb.576:                              ;   in Loop: Header=BB4_350 Depth=3
	v_cmp_lt_u64_e32 vcc, s[60:61], v[2:3]
	v_add_u32_e32 v27, 15, v39
	v_cndmask_b32_e32 v36, v38, v27, vcc
	v_cndmask_b32_e64 v27, 0, 1, vcc
	v_lshrrev_b64 v[27:28], v27, v[2:3]
; %bb.577:                              ;   in Loop: Header=BB4_350 Depth=3
	s_andn2_saveexec_b64 s[18:19], s[18:19]
; %bb.578:                              ;   in Loop: Header=BB4_350 Depth=3
	v_mov_b32_e32 v28, v3
	v_bfe_u32 v36, v2, 23, 1
	v_mov_b32_e32 v27, v2
; %bb.579:                              ;   in Loop: Header=BB4_350 Depth=3
	s_or_b64 exec, exec, s[18:19]
	v_lshrrev_b64 v[27:28], 21, v[27:28]
	v_cmp_gt_i32_e32 vcc, 32, v36
	v_cndmask_b32_e32 v28, 0, v28, vcc
	v_cndmask_b32_e32 v27, 3, v27, vcc
	v_min_i32_e32 v2, 31, v36
	v_cmp_eq_u64_e64 s[18:19], 0, v[27:28]
	v_lshlrev_b32_e32 v2, 2, v2
	v_cmp_eq_u32_e32 vcc, 0, v36
	v_and_b32_e32 v2, 0xfc, v2
	v_and_or_b32 v2, v27, 3, v2
	s_and_b64 s[18:19], vcc, s[18:19]
	v_cndmask_b32_e64 v2, v2, 0, s[18:19]
	v_or_b32_e32 v36, v2, v0
.LBB4_580:                              ;   in Loop: Header=BB4_350 Depth=3
	s_or_b64 exec, exec, s[78:79]
                                        ; implicit-def: $vgpr0
.LBB4_581:                              ;   in Loop: Header=BB4_350 Depth=3
	s_andn2_saveexec_b64 s[18:19], s[76:77]
; %bb.582:                              ;   in Loop: Header=BB4_350 Depth=3
	v_or_b32_e32 v36, 0x7b, v0
; %bb.583:                              ;   in Loop: Header=BB4_350 Depth=3
	s_or_b64 exec, exec, s[18:19]
                                        ; implicit-def: $vgpr27
.LBB4_584:                              ;   in Loop: Header=BB4_350 Depth=3
	s_andn2_saveexec_b64 s[18:19], s[74:75]
	s_cbranch_execz .LBB4_590
; %bb.585:                              ;   in Loop: Header=BB4_350 Depth=3
	v_cmp_ne_u64_e32 vcc, 0, v[2:3]
                                        ; implicit-def: $vgpr36
	s_and_saveexec_b64 s[74:75], vcc
	s_xor_b64 s[74:75], exec, s[74:75]
; %bb.586:                              ;   in Loop: Header=BB4_350 Depth=3
	v_or_b32_sdwa v36, v27, s50 dst_sel:DWORD dst_unused:UNUSED_PAD src0_sel:BYTE_3 src1_sel:DWORD
                                        ; implicit-def: $vgpr27
; %bb.587:                              ;   in Loop: Header=BB4_350 Depth=3
	s_andn2_saveexec_b64 s[74:75], s[74:75]
; %bb.588:                              ;   in Loop: Header=BB4_350 Depth=3
	v_cmp_lt_i32_e32 vcc, -1, v27
	v_cndmask_b32_e32 v36, v49, v11, vcc
; %bb.589:                              ;   in Loop: Header=BB4_350 Depth=3
	s_or_b64 exec, exec, s[74:75]
.LBB4_590:                              ;   in Loop: Header=BB4_350 Depth=3
	s_or_b64 exec, exec, s[18:19]
	s_waitcnt vmcnt(0)
	v_cmp_ne_u16_sdwa s[74:75], v19, v3 src0_sel:BYTE_0 src1_sel:DWORD
	v_mov_b32_e32 v28, 0
	v_mov_b32_e32 v27, 0
	s_and_saveexec_b64 s[18:19], s[74:75]
	s_cbranch_execz .LBB4_598
; %bb.591:                              ;   in Loop: Header=BB4_350 Depth=3
	v_cmp_ne_u16_sdwa s[76:77], sext(v19), s38 src0_sel:BYTE_0 src1_sel:DWORD
	v_bfrev_b32_e32 v27, 1
	s_and_saveexec_b64 s[74:75], s[76:77]
	s_cbranch_execz .LBB4_597
; %bb.592:                              ;   in Loop: Header=BB4_350 Depth=3
	v_and_b32_e32 v2, 0x7c, v19
	v_and_b32_e32 v0, 3, v19
	v_cmp_ne_u32_e32 vcc, s39, v2
                                        ; implicit-def: $vgpr27
	s_and_saveexec_b64 s[76:77], vcc
	s_xor_b64 s[76:77], exec, s[76:77]
	s_cbranch_execz .LBB4_594
; %bb.593:                              ;   in Loop: Header=BB4_350 Depth=3
	v_ffbh_u32_e32 v27, v0
	v_min_u32_e32 v27, 32, v27
	v_bfe_u32 v2, v19, 2, 5
	v_subrev_u32_e32 v38, 29, v27
	v_lshlrev_b64 v[38:39], v38, v[19:20]
	v_sub_u32_e32 v20, 30, v27
	v_cmp_eq_u32_e32 vcc, 0, v2
	v_cndmask_b32_e32 v2, v2, v20, vcc
	v_lshlrev_b32_e32 v20, 24, v19
	v_and_b32_e32 v27, 3, v38
	v_and_b32_e32 v20, 0x80000000, v20
	v_cndmask_b32_e32 v0, v0, v27, vcc
	v_lshl_add_u32 v2, v2, 23, v20
	v_lshl_or_b32 v0, v0, 21, v2
	v_add_u32_e32 v27, 0x38000000, v0
                                        ; implicit-def: $vgpr0
.LBB4_594:                              ;   in Loop: Header=BB4_350 Depth=3
	s_andn2_saveexec_b64 s[76:77], s[76:77]
; %bb.595:                              ;   in Loop: Header=BB4_350 Depth=3
	v_cmp_gt_i16_sdwa vcc, sext(v19), v7 src0_sel:BYTE_0 src1_sel:DWORD
	v_cndmask_b32_e32 v2, v8, v54, vcc
	v_cmp_eq_u32_e32 vcc, 0, v0
	v_cndmask_b32_e32 v27, v55, v2, vcc
; %bb.596:                              ;   in Loop: Header=BB4_350 Depth=3
	s_or_b64 exec, exec, s[76:77]
.LBB4_597:                              ;   in Loop: Header=BB4_350 Depth=3
	s_or_b64 exec, exec, s[74:75]
.LBB4_598:                              ;   in Loop: Header=BB4_350 Depth=3
	s_or_b64 exec, exec, s[18:19]
	v_lshl_or_b32 v0, v24, 8, v17
	v_lshlrev_b32_e32 v2, 16, v37
	v_lshlrev_b32_e32 v20, 24, v56
	v_or3_b32 v2, v2, v20, v0
	v_cmp_ne_u32_e32 vcc, 0, v17
	s_and_saveexec_b64 s[74:75], vcc
	s_cbranch_execz .LBB4_606
; %bb.599:                              ;   in Loop: Header=BB4_350 Depth=3
	v_cmp_ne_u32_e32 vcc, s48, v17
	v_bfrev_b32_e32 v28, 1
	s_and_saveexec_b64 s[76:77], vcc
	s_cbranch_execz .LBB4_605
; %bb.600:                              ;   in Loop: Header=BB4_350 Depth=3
	v_and_b32_e32 v24, 0x7c, v17
	v_and_b32_e32 v20, 3, v17
	v_cmp_ne_u32_e32 vcc, s39, v24
                                        ; implicit-def: $vgpr28
	s_and_saveexec_b64 s[18:19], vcc
	s_xor_b64 s[18:19], exec, s[18:19]
	s_cbranch_execz .LBB4_602
; %bb.601:                              ;   in Loop: Header=BB4_350 Depth=3
	v_ffbh_u32_e32 v28, v20
	v_min_u32_e32 v28, 32, v28
	v_subrev_u32_e32 v37, 29, v28
	v_bfe_u32 v24, v17, 2, 5
	v_lshlrev_b64 v[37:38], v37, v[2:3]
	v_sub_u32_e32 v28, 30, v28
	v_cmp_eq_u32_e32 vcc, 0, v24
	v_lshlrev_b32_e32 v17, 24, v17
	v_and_b32_e32 v37, 3, v37
	v_cndmask_b32_e32 v24, v24, v28, vcc
	v_and_b32_e32 v17, 0x80000000, v17
	v_cndmask_b32_e32 v20, v20, v37, vcc
	v_lshl_add_u32 v17, v24, 23, v17
	v_lshl_or_b32 v17, v20, 21, v17
	v_add_u32_e32 v28, 0x38000000, v17
                                        ; implicit-def: $vgpr20
                                        ; implicit-def: $vgpr17
.LBB4_602:                              ;   in Loop: Header=BB4_350 Depth=3
	s_andn2_saveexec_b64 s[78:79], s[18:19]
; %bb.603:                              ;   in Loop: Header=BB4_350 Depth=3
	v_and_b32_e32 v17, 0x80, v17
	v_cmp_eq_u32_e64 s[18:19], 0, v17
	v_cmp_eq_u32_e32 vcc, 0, v20
	v_cndmask_b32_e64 v17, v8, v54, s[18:19]
	v_cndmask_b32_e32 v28, v55, v17, vcc
; %bb.604:                              ;   in Loop: Header=BB4_350 Depth=3
	s_or_b64 exec, exec, s[78:79]
.LBB4_605:                              ;   in Loop: Header=BB4_350 Depth=3
	s_or_b64 exec, exec, s[76:77]
.LBB4_606:                              ;   in Loop: Header=BB4_350 Depth=3
	s_or_b64 exec, exec, s[74:75]
	v_add_f32_e32 v24, v27, v28
	v_and_b32_e32 v37, 0x7f800000, v24
	v_mov_b32_e32 v38, v3
	v_cmp_ne_u64_e32 vcc, s[56:57], v[37:38]
	v_and_b32_e32 v27, 0x7fffff, v24
	v_mov_b32_e32 v28, v3
                                        ; implicit-def: $vgpr17
	s_and_saveexec_b64 s[18:19], vcc
	s_xor_b64 s[74:75], exec, s[18:19]
	s_cbranch_execz .LBB4_620
; %bb.607:                              ;   in Loop: Header=BB4_350 Depth=3
	v_and_b32_e32 v37, 0x7fffffff, v24
	v_mov_b32_e32 v38, v3
	v_cmp_gt_u64_e32 vcc, s[58:59], v[37:38]
	v_and_b32_sdwa v20, v24, s48 dst_sel:DWORD dst_unused:UNUSED_PAD src0_sel:BYTE_3 src1_sel:DWORD
                                        ; implicit-def: $vgpr17
	s_and_saveexec_b64 s[18:19], vcc
	s_xor_b64 s[76:77], exec, s[18:19]
	s_cbranch_execz .LBB4_617
; %bb.608:                              ;   in Loop: Header=BB4_350 Depth=3
	v_mov_b32_e32 v17, 0
	v_cmp_ne_u32_e32 vcc, 0, v24
	s_and_saveexec_b64 s[78:79], vcc
	s_cbranch_execz .LBB4_616
; %bb.609:                              ;   in Loop: Header=BB4_350 Depth=3
	v_bfe_u32 v17, v24, 23, 8
	v_cmp_gt_u32_e64 s[18:19], s49, v17
	v_sub_u32_e32 v24, 0x71, v17
	v_cmp_eq_u32_e32 vcc, 0, v17
	v_cndmask_b32_e64 v24, 0, v24, s[18:19]
	v_or_b32_e32 v37, 0x800000, v27
	v_cndmask_b32_e32 v24, v24, v12, vcc
	v_cndmask_b32_e32 v27, v37, v27, vcc
	v_add_u32_e32 v37, 21, v24
	v_lshlrev_b64 v[37:38], v37, -1
	v_add_u32_e32 v39, 20, v24
	v_bfi_b32 v37, v37, 0, v27
	v_lshlrev_b64 v[42:43], v39, 1
	v_lshrrev_b64 v[27:28], v24, v[27:28]
	v_bfi_b32 v38, v38, 0, 0
	v_cmp_eq_u64_e64 s[18:19], v[37:38], v[42:43]
	v_mov_b32_e32 v43, v28
	v_mov_b32_e32 v42, v27
	s_and_saveexec_b64 s[88:89], s[18:19]
; %bb.610:                              ;   in Loop: Header=BB4_350 Depth=3
	v_bfe_u32 v28, v27, 21, 1
	v_add_co_u32_e64 v28, s[18:19], v27, v28
	v_add_co_u32_e64 v42, s[18:19], -1, v28
; %bb.611:                              ;   in Loop: Header=BB4_350 Depth=3
	s_or_b64 exec, exec, s[88:89]
	v_add_u32_e32 v17, 0xffffff81, v17
	v_cndmask_b32_e32 v17, v17, v48, vcc
	v_lshrrev_b32_e32 v28, 23, v27
	v_add3_u32 v37, v24, v17, v28
	v_add_u32_e32 v24, 14, v37
	v_and_b32_e32 v17, 0x1fffff, v42
	v_add_u32_e32 v27, v17, v27
	v_mov_b32_e32 v28, v3
	v_cmp_ne_u32_e32 vcc, 0, v24
                                        ; implicit-def: $vgpr17
	s_and_saveexec_b64 s[18:19], vcc
	s_xor_b64 s[18:19], exec, s[18:19]
; %bb.612:                              ;   in Loop: Header=BB4_350 Depth=3
	v_cmp_lt_u64_e32 vcc, s[60:61], v[27:28]
	v_add_u32_e32 v17, 15, v37
	v_cndmask_b32_e32 v17, v24, v17, vcc
	v_cndmask_b32_e64 v24, 0, 1, vcc
	v_lshrrev_b64 v[27:28], v24, v[27:28]
; %bb.613:                              ;   in Loop: Header=BB4_350 Depth=3
	s_andn2_saveexec_b64 s[18:19], s[18:19]
; %bb.614:                              ;   in Loop: Header=BB4_350 Depth=3
	v_bfe_u32 v17, v27, 23, 1
; %bb.615:                              ;   in Loop: Header=BB4_350 Depth=3
	s_or_b64 exec, exec, s[18:19]
	v_lshrrev_b64 v[27:28], 21, v[27:28]
	v_cmp_gt_i32_e32 vcc, 32, v17
	v_cndmask_b32_e32 v28, 0, v28, vcc
	v_cndmask_b32_e32 v27, 3, v27, vcc
	v_cmp_eq_u32_e32 vcc, 0, v17
	v_min_i32_e32 v17, 31, v17
	v_cmp_eq_u64_e64 s[18:19], 0, v[27:28]
	v_lshlrev_b32_e32 v17, 2, v17
	v_and_b32_e32 v17, 0xfc, v17
	v_and_or_b32 v17, v27, 3, v17
	s_and_b64 s[18:19], vcc, s[18:19]
	v_cndmask_b32_e64 v17, v17, 0, s[18:19]
	v_or_b32_e32 v17, v17, v20
.LBB4_616:                              ;   in Loop: Header=BB4_350 Depth=3
	s_or_b64 exec, exec, s[78:79]
                                        ; implicit-def: $vgpr20
.LBB4_617:                              ;   in Loop: Header=BB4_350 Depth=3
	s_andn2_saveexec_b64 s[18:19], s[76:77]
; %bb.618:                              ;   in Loop: Header=BB4_350 Depth=3
	v_or_b32_e32 v17, 0x7b, v20
; %bb.619:                              ;   in Loop: Header=BB4_350 Depth=3
	s_or_b64 exec, exec, s[18:19]
                                        ; implicit-def: $vgpr24
                                        ; implicit-def: $vgpr27_vgpr28
.LBB4_620:                              ;   in Loop: Header=BB4_350 Depth=3
	s_andn2_saveexec_b64 s[18:19], s[74:75]
	s_cbranch_execz .LBB4_626
; %bb.621:                              ;   in Loop: Header=BB4_350 Depth=3
	v_cmp_ne_u64_e32 vcc, 0, v[27:28]
                                        ; implicit-def: $vgpr17
	s_and_saveexec_b64 s[74:75], vcc
	s_xor_b64 s[74:75], exec, s[74:75]
; %bb.622:                              ;   in Loop: Header=BB4_350 Depth=3
	v_or_b32_sdwa v17, v24, s50 dst_sel:DWORD dst_unused:UNUSED_PAD src0_sel:BYTE_3 src1_sel:DWORD
                                        ; implicit-def: $vgpr24
; %bb.623:                              ;   in Loop: Header=BB4_350 Depth=3
	s_andn2_saveexec_b64 s[74:75], s[74:75]
; %bb.624:                              ;   in Loop: Header=BB4_350 Depth=3
	v_cmp_lt_i32_e32 vcc, -1, v24
	v_cndmask_b32_e32 v17, v49, v11, vcc
; %bb.625:                              ;   in Loop: Header=BB4_350 Depth=3
	s_or_b64 exec, exec, s[74:75]
.LBB4_626:                              ;   in Loop: Header=BB4_350 Depth=3
	s_or_b64 exec, exec, s[18:19]
	v_lshrrev_b16_e32 v27, 8, v19
	v_cmp_ne_u16_e32 vcc, 0, v27
	v_mov_b32_e32 v20, 0
	v_mov_b32_e32 v24, 0
	s_and_saveexec_b64 s[18:19], vcc
	s_cbranch_execz .LBB4_634
; %bb.627:                              ;   in Loop: Header=BB4_350 Depth=3
	v_cmp_ne_u16_e32 vcc, s48, v27
	v_bfrev_b32_e32 v24, 1
	s_and_saveexec_b64 s[74:75], vcc
	s_cbranch_execz .LBB4_633
; %bb.628:                              ;   in Loop: Header=BB4_350 Depth=3
	v_and_b32_e32 v24, 0x7c, v27
	v_and_b32_e32 v37, 3, v27
	v_cmp_ne_u32_e32 vcc, s39, v24
                                        ; implicit-def: $vgpr24
	s_and_saveexec_b64 s[76:77], vcc
	s_xor_b64 s[76:77], exec, s[76:77]
	s_cbranch_execz .LBB4_630
; %bb.629:                              ;   in Loop: Header=BB4_350 Depth=3
	v_ffbh_u32_e32 v38, v37
	v_min_u32_e32 v38, 32, v38
	v_mov_b32_e32 v28, v3
	v_subrev_u32_e32 v39, 29, v38
	v_bfe_u32 v24, v27, 2, 5
	v_lshlrev_b64 v[27:28], v39, v[27:28]
	v_sub_u32_e32 v28, 30, v38
	v_cmp_eq_u32_e32 vcc, 0, v24
	v_cndmask_b32_e32 v24, v24, v28, vcc
	v_lshlrev_b32_e32 v28, 16, v19
	v_and_b32_e32 v27, 3, v27
	v_and_b32_e32 v28, 0x80000000, v28
	v_cndmask_b32_e32 v27, v37, v27, vcc
	v_lshl_add_u32 v24, v24, 23, v28
	v_lshl_or_b32 v24, v27, 21, v24
	v_add_u32_e32 v24, 0x38000000, v24
                                        ; implicit-def: $vgpr37
.LBB4_630:                              ;   in Loop: Header=BB4_350 Depth=3
	s_andn2_saveexec_b64 s[76:77], s[76:77]
; %bb.631:                              ;   in Loop: Header=BB4_350 Depth=3
	v_cmp_lt_i16_e32 vcc, -1, v19
	v_cndmask_b32_e32 v24, v8, v54, vcc
	v_cmp_eq_u32_e32 vcc, 0, v37
	v_cndmask_b32_e32 v24, v55, v24, vcc
; %bb.632:                              ;   in Loop: Header=BB4_350 Depth=3
	s_or_b64 exec, exec, s[76:77]
.LBB4_633:                              ;   in Loop: Header=BB4_350 Depth=3
	s_or_b64 exec, exec, s[74:75]
.LBB4_634:                              ;   in Loop: Header=BB4_350 Depth=3
	s_or_b64 exec, exec, s[18:19]
	v_lshrrev_b16_e32 v27, 8, v0
	v_cmp_ne_u16_e32 vcc, 0, v27
	s_and_saveexec_b64 s[18:19], vcc
	s_cbranch_execz .LBB4_642
; %bb.635:                              ;   in Loop: Header=BB4_350 Depth=3
	v_cmp_ne_u16_e32 vcc, s48, v27
	v_bfrev_b32_e32 v20, 1
	s_and_saveexec_b64 s[74:75], vcc
	s_cbranch_execz .LBB4_641
; %bb.636:                              ;   in Loop: Header=BB4_350 Depth=3
	v_and_b32_e32 v20, 0x7c, v27
	v_and_b32_e32 v37, 3, v27
	v_cmp_ne_u32_e32 vcc, s39, v20
                                        ; implicit-def: $vgpr20
	s_and_saveexec_b64 s[76:77], vcc
	s_xor_b64 s[76:77], exec, s[76:77]
	s_cbranch_execz .LBB4_638
; %bb.637:                              ;   in Loop: Header=BB4_350 Depth=3
	v_ffbh_u32_e32 v38, v37
	v_min_u32_e32 v38, 32, v38
	v_mov_b32_e32 v28, v3
	v_subrev_u32_e32 v39, 29, v38
	v_bfe_u32 v20, v27, 2, 5
	v_lshlrev_b64 v[27:28], v39, v[27:28]
	v_sub_u32_e32 v28, 30, v38
	v_cmp_eq_u32_e32 vcc, 0, v20
	v_lshlrev_b32_e32 v0, 16, v0
	v_and_b32_e32 v27, 3, v27
	v_cndmask_b32_e32 v20, v20, v28, vcc
	v_and_b32_e32 v0, 0x80000000, v0
	v_cndmask_b32_e32 v27, v37, v27, vcc
	v_lshl_add_u32 v0, v20, 23, v0
	v_lshl_or_b32 v0, v27, 21, v0
	v_add_u32_e32 v20, 0x38000000, v0
                                        ; implicit-def: $vgpr37
                                        ; implicit-def: $vgpr0
.LBB4_638:                              ;   in Loop: Header=BB4_350 Depth=3
	s_andn2_saveexec_b64 s[76:77], s[76:77]
; %bb.639:                              ;   in Loop: Header=BB4_350 Depth=3
	v_cmp_lt_i16_e32 vcc, -1, v0
	v_cndmask_b32_e32 v0, v8, v54, vcc
	v_cmp_eq_u32_e32 vcc, 0, v37
	v_cndmask_b32_e32 v20, v55, v0, vcc
; %bb.640:                              ;   in Loop: Header=BB4_350 Depth=3
	s_or_b64 exec, exec, s[76:77]
.LBB4_641:                              ;   in Loop: Header=BB4_350 Depth=3
	s_or_b64 exec, exec, s[74:75]
.LBB4_642:                              ;   in Loop: Header=BB4_350 Depth=3
	s_or_b64 exec, exec, s[18:19]
	v_add_f32_e32 v20, v24, v20
	v_and_b32_e32 v37, 0x7f800000, v20
	v_mov_b32_e32 v38, v3
	v_cmp_ne_u64_e32 vcc, s[56:57], v[37:38]
	v_and_b32_e32 v27, 0x7fffff, v20
	v_mov_b32_e32 v28, v3
                                        ; implicit-def: $vgpr56
	s_and_saveexec_b64 s[18:19], vcc
	s_xor_b64 s[74:75], exec, s[18:19]
	s_cbranch_execz .LBB4_656
; %bb.643:                              ;   in Loop: Header=BB4_350 Depth=3
	v_and_b32_e32 v37, 0x7fffffff, v20
	v_mov_b32_e32 v38, v3
	v_cmp_gt_u64_e32 vcc, s[58:59], v[37:38]
	v_and_b32_sdwa v0, v20, s48 dst_sel:DWORD dst_unused:UNUSED_PAD src0_sel:BYTE_3 src1_sel:DWORD
                                        ; implicit-def: $vgpr56
	s_and_saveexec_b64 s[18:19], vcc
	s_xor_b64 s[76:77], exec, s[18:19]
	s_cbranch_execz .LBB4_653
; %bb.644:                              ;   in Loop: Header=BB4_350 Depth=3
	v_mov_b32_e32 v56, 0
	v_cmp_ne_u32_e32 vcc, 0, v20
	s_and_saveexec_b64 s[78:79], vcc
	s_cbranch_execz .LBB4_652
; %bb.645:                              ;   in Loop: Header=BB4_350 Depth=3
	v_bfe_u32 v20, v20, 23, 8
	v_cmp_gt_u32_e64 s[18:19], s49, v20
	v_sub_u32_e32 v24, 0x71, v20
	v_cmp_eq_u32_e32 vcc, 0, v20
	v_cndmask_b32_e64 v24, 0, v24, s[18:19]
	v_or_b32_e32 v37, 0x800000, v27
	v_cndmask_b32_e32 v24, v24, v12, vcc
	v_cndmask_b32_e32 v27, v37, v27, vcc
	v_add_u32_e32 v37, 21, v24
	v_lshlrev_b64 v[37:38], v37, -1
	v_add_u32_e32 v39, 20, v24
	v_bfi_b32 v37, v37, 0, v27
	v_lshlrev_b64 v[42:43], v39, 1
	v_lshrrev_b64 v[27:28], v24, v[27:28]
	v_bfi_b32 v38, v38, 0, 0
	v_cmp_eq_u64_e64 s[18:19], v[37:38], v[42:43]
	v_mov_b32_e32 v43, v28
	v_mov_b32_e32 v42, v27
	s_and_saveexec_b64 s[88:89], s[18:19]
; %bb.646:                              ;   in Loop: Header=BB4_350 Depth=3
	v_bfe_u32 v28, v27, 21, 1
	v_add_co_u32_e64 v28, s[18:19], v27, v28
	v_add_co_u32_e64 v42, s[18:19], -1, v28
; %bb.647:                              ;   in Loop: Header=BB4_350 Depth=3
	s_or_b64 exec, exec, s[88:89]
	v_add_u32_e32 v20, 0xffffff81, v20
	v_cndmask_b32_e32 v20, v20, v48, vcc
	v_lshrrev_b32_e32 v28, 23, v27
	v_add3_u32 v37, v24, v20, v28
	v_add_u32_e32 v24, 14, v37
	v_and_b32_e32 v20, 0x1fffff, v42
	v_add_u32_e32 v27, v20, v27
	v_mov_b32_e32 v28, v3
	v_cmp_ne_u32_e32 vcc, 0, v24
                                        ; implicit-def: $vgpr20
	s_and_saveexec_b64 s[18:19], vcc
	s_xor_b64 s[18:19], exec, s[18:19]
; %bb.648:                              ;   in Loop: Header=BB4_350 Depth=3
	v_cmp_lt_u64_e32 vcc, s[60:61], v[27:28]
	v_add_u32_e32 v20, 15, v37
	v_cndmask_b32_e32 v20, v24, v20, vcc
	v_cndmask_b32_e64 v24, 0, 1, vcc
	v_lshrrev_b64 v[27:28], v24, v[27:28]
; %bb.649:                              ;   in Loop: Header=BB4_350 Depth=3
	s_andn2_saveexec_b64 s[18:19], s[18:19]
; %bb.650:                              ;   in Loop: Header=BB4_350 Depth=3
	v_bfe_u32 v20, v27, 23, 1
; %bb.651:                              ;   in Loop: Header=BB4_350 Depth=3
	s_or_b64 exec, exec, s[18:19]
	v_lshrrev_b64 v[27:28], 21, v[27:28]
	v_cmp_gt_i32_e32 vcc, 32, v20
	v_cndmask_b32_e32 v28, 0, v28, vcc
	v_cndmask_b32_e32 v27, 3, v27, vcc
	v_cmp_eq_u32_e32 vcc, 0, v20
	v_min_i32_e32 v20, 31, v20
	v_cmp_eq_u64_e64 s[18:19], 0, v[27:28]
	v_lshlrev_b32_e32 v20, 2, v20
	v_and_b32_e32 v20, 0xfc, v20
	v_and_or_b32 v20, v27, 3, v20
	s_and_b64 s[18:19], vcc, s[18:19]
	v_cndmask_b32_e64 v20, v20, 0, s[18:19]
	v_or_b32_e32 v56, v20, v0
.LBB4_652:                              ;   in Loop: Header=BB4_350 Depth=3
	s_or_b64 exec, exec, s[78:79]
                                        ; implicit-def: $vgpr0
.LBB4_653:                              ;   in Loop: Header=BB4_350 Depth=3
	s_andn2_saveexec_b64 s[18:19], s[76:77]
; %bb.654:                              ;   in Loop: Header=BB4_350 Depth=3
	v_or_b32_e32 v56, 0x7b, v0
; %bb.655:                              ;   in Loop: Header=BB4_350 Depth=3
	s_or_b64 exec, exec, s[18:19]
                                        ; implicit-def: $vgpr20
                                        ; implicit-def: $vgpr27_vgpr28
.LBB4_656:                              ;   in Loop: Header=BB4_350 Depth=3
	s_andn2_saveexec_b64 s[18:19], s[74:75]
	s_cbranch_execz .LBB4_662
; %bb.657:                              ;   in Loop: Header=BB4_350 Depth=3
	v_cmp_ne_u64_e32 vcc, 0, v[27:28]
                                        ; implicit-def: $vgpr56
	s_and_saveexec_b64 s[74:75], vcc
	s_xor_b64 s[74:75], exec, s[74:75]
; %bb.658:                              ;   in Loop: Header=BB4_350 Depth=3
	v_or_b32_sdwa v56, v20, s50 dst_sel:DWORD dst_unused:UNUSED_PAD src0_sel:BYTE_3 src1_sel:DWORD
                                        ; implicit-def: $vgpr20
; %bb.659:                              ;   in Loop: Header=BB4_350 Depth=3
	s_andn2_saveexec_b64 s[74:75], s[74:75]
; %bb.660:                              ;   in Loop: Header=BB4_350 Depth=3
	v_cmp_lt_i32_e32 vcc, -1, v20
	v_cndmask_b32_e32 v56, v49, v11, vcc
; %bb.661:                              ;   in Loop: Header=BB4_350 Depth=3
	s_or_b64 exec, exec, s[74:75]
.LBB4_662:                              ;   in Loop: Header=BB4_350 Depth=3
	s_or_b64 exec, exec, s[18:19]
	v_lshrrev_b32_e32 v0, 16, v19
	v_cmp_ne_u16_sdwa s[74:75], v0, v3 src0_sel:BYTE_0 src1_sel:DWORD
	v_mov_b32_e32 v24, 0
	v_mov_b32_e32 v20, 0
	s_and_saveexec_b64 s[18:19], s[74:75]
	s_cbranch_execz .LBB4_670
; %bb.663:                              ;   in Loop: Header=BB4_350 Depth=3
	v_cmp_ne_u16_sdwa s[76:77], v0, s48 src0_sel:BYTE_0 src1_sel:DWORD
	v_bfrev_b32_e32 v20, 1
	s_and_saveexec_b64 s[74:75], s[76:77]
	s_cbranch_execz .LBB4_669
; %bb.664:                              ;   in Loop: Header=BB4_350 Depth=3
	v_and_b32_e32 v20, 0x7c0000, v19
	v_bfe_u32 v27, v19, 16, 2
	v_cmp_ne_u32_e32 vcc, s51, v20
                                        ; implicit-def: $vgpr20
	s_and_saveexec_b64 s[76:77], vcc
	s_xor_b64 s[76:77], exec, s[76:77]
	s_cbranch_execz .LBB4_666
; %bb.665:                              ;   in Loop: Header=BB4_350 Depth=3
	v_ffbh_u32_e32 v28, v27
	v_min_u32_e32 v28, 32, v28
	v_subrev_u32_e32 v37, 29, v28
	v_lshlrev_b64 v[37:38], v37, v[0:1]
	v_bfe_u32 v20, v19, 18, 5
	v_sub_u32_e32 v0, 30, v28
	v_and_b32_e32 v28, 3, v37
	v_cmp_eq_u32_e32 vcc, 0, v20
	v_cndmask_b32_e32 v0, v20, v0, vcc
	v_cndmask_b32_e32 v20, v27, v28, vcc
	v_lshlrev_b32_e32 v27, 8, v19
	v_and_b32_e32 v27, 0x80000000, v27
	v_lshl_add_u32 v0, v0, 23, v27
	v_lshl_or_b32 v0, v20, 21, v0
	v_add_u32_e32 v20, 0x38000000, v0
                                        ; implicit-def: $vgpr27
                                        ; implicit-def: $vgpr0
.LBB4_666:                              ;   in Loop: Header=BB4_350 Depth=3
	s_andn2_saveexec_b64 s[76:77], s[76:77]
; %bb.667:                              ;   in Loop: Header=BB4_350 Depth=3
	v_cmp_gt_i16_sdwa vcc, sext(v0), v7 src0_sel:BYTE_0 src1_sel:DWORD
	v_cndmask_b32_e32 v0, v8, v54, vcc
	v_cmp_eq_u32_e32 vcc, 0, v27
	v_cndmask_b32_e32 v20, v55, v0, vcc
; %bb.668:                              ;   in Loop: Header=BB4_350 Depth=3
	s_or_b64 exec, exec, s[76:77]
.LBB4_669:                              ;   in Loop: Header=BB4_350 Depth=3
	s_or_b64 exec, exec, s[74:75]
.LBB4_670:                              ;   in Loop: Header=BB4_350 Depth=3
	s_or_b64 exec, exec, s[18:19]
	v_and_b32_sdwa v27, v2, s37 dst_sel:DWORD dst_unused:UNUSED_PAD src0_sel:WORD_1 src1_sel:DWORD
	v_lshrrev_b32_e32 v0, 16, v2
	v_cmp_ne_u16_e32 vcc, 0, v27
	s_and_saveexec_b64 s[18:19], vcc
	s_cbranch_execz .LBB4_678
; %bb.671:                              ;   in Loop: Header=BB4_350 Depth=3
	v_cmp_ne_u16_e32 vcc, s48, v27
	v_bfrev_b32_e32 v24, 1
	s_and_saveexec_b64 s[74:75], vcc
	s_cbranch_execz .LBB4_677
; %bb.672:                              ;   in Loop: Header=BB4_350 Depth=3
	v_and_b32_e32 v24, 0x7c0000, v2
	v_bfe_u32 v27, v2, 16, 2
	v_cmp_ne_u32_e32 vcc, s51, v24
                                        ; implicit-def: $vgpr24
	s_and_saveexec_b64 s[76:77], vcc
	s_xor_b64 s[76:77], exec, s[76:77]
	s_cbranch_execz .LBB4_674
; %bb.673:                              ;   in Loop: Header=BB4_350 Depth=3
	v_ffbh_u32_e32 v28, v27
	v_min_u32_e32 v28, 32, v28
	v_lshrrev_b32_e32 v0, 16, v2
	v_subrev_u32_e32 v37, 29, v28
	v_lshlrev_b64 v[37:38], v37, v[0:1]
	v_bfe_u32 v24, v2, 18, 5
	v_sub_u32_e32 v0, 30, v28
	v_and_b32_e32 v28, 3, v37
	v_cmp_eq_u32_e32 vcc, 0, v24
	v_cndmask_b32_e32 v0, v24, v0, vcc
	v_cndmask_b32_e32 v24, v27, v28, vcc
	v_lshlrev_b32_e32 v27, 8, v2
	v_and_b32_e32 v27, 0x80000000, v27
	v_lshl_add_u32 v0, v0, 23, v27
	v_lshl_or_b32 v0, v24, 21, v0
	v_add_u32_e32 v24, 0x38000000, v0
                                        ; implicit-def: $vgpr27
                                        ; implicit-def: $vgpr0
.LBB4_674:                              ;   in Loop: Header=BB4_350 Depth=3
	s_andn2_saveexec_b64 s[76:77], s[76:77]
; %bb.675:                              ;   in Loop: Header=BB4_350 Depth=3
	v_cmp_gt_i16_sdwa vcc, sext(v0), v7 src0_sel:BYTE_0 src1_sel:DWORD
	v_cndmask_b32_e32 v0, v8, v54, vcc
	v_cmp_eq_u32_e32 vcc, 0, v27
	v_cndmask_b32_e32 v24, v55, v0, vcc
; %bb.676:                              ;   in Loop: Header=BB4_350 Depth=3
	s_or_b64 exec, exec, s[76:77]
.LBB4_677:                              ;   in Loop: Header=BB4_350 Depth=3
	s_or_b64 exec, exec, s[74:75]
.LBB4_678:                              ;   in Loop: Header=BB4_350 Depth=3
	s_or_b64 exec, exec, s[18:19]
	v_add_f32_e32 v20, v20, v24
	v_and_b32_e32 v37, 0x7f800000, v20
	v_mov_b32_e32 v38, v3
	v_cmp_ne_u64_e32 vcc, s[56:57], v[37:38]
	v_and_b32_e32 v27, 0x7fffff, v20
	v_mov_b32_e32 v28, v3
                                        ; implicit-def: $vgpr42
	s_and_saveexec_b64 s[18:19], vcc
	s_xor_b64 s[74:75], exec, s[18:19]
	s_cbranch_execz .LBB4_692
; %bb.679:                              ;   in Loop: Header=BB4_350 Depth=3
	v_and_b32_e32 v37, 0x7fffffff, v20
	v_mov_b32_e32 v38, v3
	v_cmp_gt_u64_e32 vcc, s[58:59], v[37:38]
	v_and_b32_sdwa v0, v20, s48 dst_sel:DWORD dst_unused:UNUSED_PAD src0_sel:BYTE_3 src1_sel:DWORD
                                        ; implicit-def: $vgpr42
	s_and_saveexec_b64 s[18:19], vcc
	s_xor_b64 s[76:77], exec, s[18:19]
	s_cbranch_execz .LBB4_689
; %bb.680:                              ;   in Loop: Header=BB4_350 Depth=3
	v_mov_b32_e32 v42, 0
	v_cmp_ne_u32_e32 vcc, 0, v20
	s_and_saveexec_b64 s[78:79], vcc
	s_cbranch_execz .LBB4_688
; %bb.681:                              ;   in Loop: Header=BB4_350 Depth=3
	v_bfe_u32 v20, v20, 23, 8
	v_cmp_gt_u32_e64 s[18:19], s49, v20
	v_sub_u32_e32 v24, 0x71, v20
	v_cmp_eq_u32_e32 vcc, 0, v20
	v_cndmask_b32_e64 v24, 0, v24, s[18:19]
	v_or_b32_e32 v37, 0x800000, v27
	v_cndmask_b32_e32 v24, v24, v12, vcc
	v_cndmask_b32_e32 v27, v37, v27, vcc
	v_add_u32_e32 v37, 21, v24
	v_lshlrev_b64 v[37:38], v37, -1
	v_add_u32_e32 v39, 20, v24
	v_bfi_b32 v37, v37, 0, v27
	v_lshlrev_b64 v[42:43], v39, 1
	v_lshrrev_b64 v[27:28], v24, v[27:28]
	v_bfi_b32 v38, v38, 0, 0
	v_cmp_eq_u64_e64 s[18:19], v[37:38], v[42:43]
	v_mov_b32_e32 v43, v28
	v_mov_b32_e32 v42, v27
	s_and_saveexec_b64 s[88:89], s[18:19]
; %bb.682:                              ;   in Loop: Header=BB4_350 Depth=3
	v_bfe_u32 v28, v27, 21, 1
	v_add_co_u32_e64 v28, s[18:19], v27, v28
	v_add_co_u32_e64 v42, s[18:19], -1, v28
; %bb.683:                              ;   in Loop: Header=BB4_350 Depth=3
	s_or_b64 exec, exec, s[88:89]
	v_add_u32_e32 v20, 0xffffff81, v20
	v_cndmask_b32_e32 v20, v20, v48, vcc
	v_lshrrev_b32_e32 v28, 23, v27
	v_add3_u32 v37, v24, v20, v28
	v_add_u32_e32 v24, 14, v37
	v_and_b32_e32 v20, 0x1fffff, v42
	v_add_u32_e32 v27, v20, v27
	v_mov_b32_e32 v28, v3
	v_cmp_ne_u32_e32 vcc, 0, v24
                                        ; implicit-def: $vgpr20
	s_and_saveexec_b64 s[18:19], vcc
	s_xor_b64 s[18:19], exec, s[18:19]
; %bb.684:                              ;   in Loop: Header=BB4_350 Depth=3
	v_cmp_lt_u64_e32 vcc, s[60:61], v[27:28]
	v_add_u32_e32 v20, 15, v37
	v_cndmask_b32_e32 v20, v24, v20, vcc
	v_cndmask_b32_e64 v24, 0, 1, vcc
	v_lshrrev_b64 v[27:28], v24, v[27:28]
; %bb.685:                              ;   in Loop: Header=BB4_350 Depth=3
	s_andn2_saveexec_b64 s[18:19], s[18:19]
; %bb.686:                              ;   in Loop: Header=BB4_350 Depth=3
	v_bfe_u32 v20, v27, 23, 1
; %bb.687:                              ;   in Loop: Header=BB4_350 Depth=3
	s_or_b64 exec, exec, s[18:19]
	v_lshrrev_b64 v[27:28], 21, v[27:28]
	v_cmp_gt_i32_e32 vcc, 32, v20
	v_cndmask_b32_e32 v28, 0, v28, vcc
	v_cndmask_b32_e32 v27, 3, v27, vcc
	v_cmp_eq_u32_e32 vcc, 0, v20
	v_min_i32_e32 v20, 31, v20
	v_cmp_eq_u64_e64 s[18:19], 0, v[27:28]
	v_lshlrev_b32_e32 v20, 2, v20
	v_and_b32_e32 v20, 0xfc, v20
	v_and_or_b32 v20, v27, 3, v20
	s_and_b64 s[18:19], vcc, s[18:19]
	v_cndmask_b32_e64 v20, v20, 0, s[18:19]
	v_or_b32_e32 v42, v20, v0
.LBB4_688:                              ;   in Loop: Header=BB4_350 Depth=3
	s_or_b64 exec, exec, s[78:79]
                                        ; implicit-def: $vgpr0
.LBB4_689:                              ;   in Loop: Header=BB4_350 Depth=3
	s_andn2_saveexec_b64 s[18:19], s[76:77]
; %bb.690:                              ;   in Loop: Header=BB4_350 Depth=3
	v_or_b32_e32 v42, 0x7b, v0
; %bb.691:                              ;   in Loop: Header=BB4_350 Depth=3
	s_or_b64 exec, exec, s[18:19]
                                        ; implicit-def: $vgpr20
                                        ; implicit-def: $vgpr27_vgpr28
.LBB4_692:                              ;   in Loop: Header=BB4_350 Depth=3
	s_andn2_saveexec_b64 s[18:19], s[74:75]
	s_cbranch_execz .LBB4_698
; %bb.693:                              ;   in Loop: Header=BB4_350 Depth=3
	v_cmp_ne_u64_e32 vcc, 0, v[27:28]
                                        ; implicit-def: $vgpr42
	s_and_saveexec_b64 s[74:75], vcc
	s_xor_b64 s[74:75], exec, s[74:75]
; %bb.694:                              ;   in Loop: Header=BB4_350 Depth=3
	v_or_b32_sdwa v42, v20, s50 dst_sel:DWORD dst_unused:UNUSED_PAD src0_sel:BYTE_3 src1_sel:DWORD
                                        ; implicit-def: $vgpr20
; %bb.695:                              ;   in Loop: Header=BB4_350 Depth=3
	s_andn2_saveexec_b64 s[74:75], s[74:75]
; %bb.696:                              ;   in Loop: Header=BB4_350 Depth=3
	v_cmp_lt_i32_e32 vcc, -1, v20
	v_cndmask_b32_e32 v42, v49, v11, vcc
; %bb.697:                              ;   in Loop: Header=BB4_350 Depth=3
	s_or_b64 exec, exec, s[74:75]
.LBB4_698:                              ;   in Loop: Header=BB4_350 Depth=3
	s_or_b64 exec, exec, s[18:19]
	v_cmp_lt_u32_e32 vcc, s47, v19
	v_mov_b32_e32 v20, 0
	v_mov_b32_e32 v24, 0
	s_and_saveexec_b64 s[18:19], vcc
	s_cbranch_execz .LBB4_706
; %bb.699:                              ;   in Loop: Header=BB4_350 Depth=3
	v_lshrrev_b32_e32 v0, 24, v19
	v_cmp_ne_u32_e32 vcc, s48, v0
	v_bfrev_b32_e32 v24, 1
	s_and_saveexec_b64 s[74:75], vcc
	s_cbranch_execz .LBB4_705
; %bb.700:                              ;   in Loop: Header=BB4_350 Depth=3
	v_and_b32_e32 v24, 0x7c000000, v19
	v_bfe_u32 v27, v19, 24, 2
	v_cmp_ne_u32_e32 vcc, s52, v24
                                        ; implicit-def: $vgpr24
	s_and_saveexec_b64 s[76:77], vcc
	s_xor_b64 s[76:77], exec, s[76:77]
	s_cbranch_execz .LBB4_702
; %bb.701:                              ;   in Loop: Header=BB4_350 Depth=3
	v_ffbh_u32_e32 v28, v27
	v_min_u32_e32 v28, 32, v28
	v_subrev_u32_e32 v37, 29, v28
	v_bfe_u32 v24, v19, 26, 5
	v_lshlrev_b64 v[37:38], v37, v[0:1]
	v_sub_u32_e32 v0, 30, v28
	v_cmp_eq_u32_e32 vcc, 0, v24
	v_and_b32_e32 v28, 3, v37
	v_cndmask_b32_e32 v0, v24, v0, vcc
	v_and_b32_e32 v19, 0x80000000, v19
	v_cndmask_b32_e32 v24, v27, v28, vcc
	v_lshl_add_u32 v0, v0, 23, v19
	v_lshl_or_b32 v0, v24, 21, v0
	v_add_u32_e32 v24, 0x38000000, v0
                                        ; implicit-def: $vgpr27
.LBB4_702:                              ;   in Loop: Header=BB4_350 Depth=3
	s_andn2_saveexec_b64 s[76:77], s[76:77]
; %bb.703:                              ;   in Loop: Header=BB4_350 Depth=3
	v_cmp_lt_i32_e32 vcc, -1, v19
	v_cndmask_b32_e32 v0, v8, v54, vcc
	v_cmp_eq_u32_e32 vcc, 0, v27
	v_cndmask_b32_e32 v24, v55, v0, vcc
; %bb.704:                              ;   in Loop: Header=BB4_350 Depth=3
	s_or_b64 exec, exec, s[76:77]
.LBB4_705:                              ;   in Loop: Header=BB4_350 Depth=3
	s_or_b64 exec, exec, s[74:75]
.LBB4_706:                              ;   in Loop: Header=BB4_350 Depth=3
	s_or_b64 exec, exec, s[18:19]
	v_cmp_lt_u32_e32 vcc, s47, v2
	s_and_saveexec_b64 s[18:19], vcc
	s_cbranch_execz .LBB4_714
; %bb.707:                              ;   in Loop: Header=BB4_350 Depth=3
	v_lshrrev_b32_e32 v0, 24, v2
	v_cmp_ne_u32_e32 vcc, s48, v0
	v_bfrev_b32_e32 v20, 1
	s_and_saveexec_b64 s[74:75], vcc
	s_cbranch_execz .LBB4_713
; %bb.708:                              ;   in Loop: Header=BB4_350 Depth=3
	v_and_b32_e32 v20, 0x7c000000, v2
	v_bfe_u32 v19, v2, 24, 2
	v_cmp_ne_u32_e32 vcc, s52, v20
                                        ; implicit-def: $vgpr20
	s_and_saveexec_b64 s[76:77], vcc
	s_xor_b64 s[76:77], exec, s[76:77]
	s_cbranch_execz .LBB4_710
; %bb.709:                              ;   in Loop: Header=BB4_350 Depth=3
	v_ffbh_u32_e32 v27, v19
	v_min_u32_e32 v37, 32, v27
	v_subrev_u32_e32 v27, 29, v37
	v_bfe_u32 v20, v2, 26, 5
	v_lshlrev_b64 v[27:28], v27, v[0:1]
	v_sub_u32_e32 v0, 30, v37
	v_cmp_eq_u32_e32 vcc, 0, v20
	v_and_b32_e32 v27, 3, v27
	v_cndmask_b32_e32 v0, v20, v0, vcc
	v_and_b32_e32 v2, 0x80000000, v2
	v_cndmask_b32_e32 v19, v19, v27, vcc
	v_lshl_add_u32 v0, v0, 23, v2
	v_lshl_or_b32 v0, v19, 21, v0
	v_add_u32_e32 v20, 0x38000000, v0
                                        ; implicit-def: $vgpr19
.LBB4_710:                              ;   in Loop: Header=BB4_350 Depth=3
	s_andn2_saveexec_b64 s[76:77], s[76:77]
; %bb.711:                              ;   in Loop: Header=BB4_350 Depth=3
	v_cmp_lt_i32_e32 vcc, -1, v2
	v_cndmask_b32_e32 v0, v8, v54, vcc
	v_cmp_eq_u32_e32 vcc, 0, v19
	v_cndmask_b32_e32 v20, v55, v0, vcc
; %bb.712:                              ;   in Loop: Header=BB4_350 Depth=3
	s_or_b64 exec, exec, s[76:77]
.LBB4_713:                              ;   in Loop: Header=BB4_350 Depth=3
	s_or_b64 exec, exec, s[74:75]
.LBB4_714:                              ;   in Loop: Header=BB4_350 Depth=3
	s_or_b64 exec, exec, s[18:19]
	v_add_f32_e32 v19, v24, v20
	v_and_b32_e32 v27, 0x7f800000, v19
	v_mov_b32_e32 v28, v3
	v_cmp_ne_u64_e32 vcc, s[56:57], v[27:28]
	v_and_b32_e32 v2, 0x7fffff, v19
                                        ; implicit-def: $vgpr24
	s_and_saveexec_b64 s[18:19], vcc
	s_xor_b64 s[74:75], exec, s[18:19]
	s_cbranch_execz .LBB4_728
; %bb.715:                              ;   in Loop: Header=BB4_350 Depth=3
	v_and_b32_e32 v27, 0x7fffffff, v19
	v_mov_b32_e32 v28, v3
	v_cmp_gt_u64_e32 vcc, s[58:59], v[27:28]
	v_and_b32_sdwa v0, v19, s48 dst_sel:DWORD dst_unused:UNUSED_PAD src0_sel:BYTE_3 src1_sel:DWORD
                                        ; implicit-def: $vgpr24
	s_and_saveexec_b64 s[18:19], vcc
	s_xor_b64 s[76:77], exec, s[18:19]
	s_cbranch_execz .LBB4_725
; %bb.716:                              ;   in Loop: Header=BB4_350 Depth=3
	v_mov_b32_e32 v24, 0
	v_cmp_ne_u32_e32 vcc, 0, v19
	s_and_saveexec_b64 s[78:79], vcc
	s_cbranch_execz .LBB4_724
; %bb.717:                              ;   in Loop: Header=BB4_350 Depth=3
	v_bfe_u32 v24, v19, 23, 8
	v_cmp_gt_u32_e64 s[18:19], s49, v24
	v_sub_u32_e32 v19, 0x71, v24
	v_cmp_eq_u32_e32 vcc, 0, v24
	v_cndmask_b32_e64 v19, 0, v19, s[18:19]
	v_cndmask_b32_e32 v37, v19, v12, vcc
	v_or_b32_e32 v20, 0x800000, v2
	v_add_u32_e32 v19, 21, v37
	v_cndmask_b32_e32 v2, v20, v2, vcc
	v_lshlrev_b64 v[19:20], v19, -1
	v_add_u32_e32 v27, 20, v37
	v_lshlrev_b64 v[27:28], v27, 1
	v_bfi_b32 v20, v20, 0, 0
	v_bfi_b32 v19, v19, 0, v2
	v_cmp_eq_u64_e64 s[18:19], v[19:20], v[27:28]
	v_lshrrev_b64 v[19:20], v37, v[2:3]
	v_mov_b32_e32 v28, v20
	v_mov_b32_e32 v27, v19
	s_and_saveexec_b64 s[88:89], s[18:19]
; %bb.718:                              ;   in Loop: Header=BB4_350 Depth=3
	v_bfe_u32 v2, v19, 21, 1
	v_add_co_u32_e64 v2, s[18:19], v19, v2
	v_add_co_u32_e64 v27, s[18:19], -1, v2
; %bb.719:                              ;   in Loop: Header=BB4_350 Depth=3
	s_or_b64 exec, exec, s[88:89]
	v_add_u32_e32 v2, 0xffffff81, v24
	v_cndmask_b32_e32 v2, v2, v48, vcc
	v_lshrrev_b32_e32 v20, 23, v19
	v_add3_u32 v37, v37, v2, v20
	v_add_u32_e32 v28, 14, v37
	v_and_b32_e32 v2, 0x1fffff, v27
	v_add_u32_e32 v2, v2, v19
	v_cmp_ne_u32_e32 vcc, 0, v28
                                        ; implicit-def: $vgpr19_vgpr20
                                        ; implicit-def: $vgpr24
	s_and_saveexec_b64 s[18:19], vcc
	s_xor_b64 s[18:19], exec, s[18:19]
; %bb.720:                              ;   in Loop: Header=BB4_350 Depth=3
	v_cmp_lt_u64_e32 vcc, s[60:61], v[2:3]
	v_add_u32_e32 v19, 15, v37
	v_cndmask_b32_e32 v24, v28, v19, vcc
	v_cndmask_b32_e64 v19, 0, 1, vcc
	v_lshrrev_b64 v[19:20], v19, v[2:3]
; %bb.721:                              ;   in Loop: Header=BB4_350 Depth=3
	s_andn2_saveexec_b64 s[18:19], s[18:19]
; %bb.722:                              ;   in Loop: Header=BB4_350 Depth=3
	v_mov_b32_e32 v20, v3
	v_bfe_u32 v24, v2, 23, 1
	v_mov_b32_e32 v19, v2
; %bb.723:                              ;   in Loop: Header=BB4_350 Depth=3
	s_or_b64 exec, exec, s[18:19]
	v_lshrrev_b64 v[19:20], 21, v[19:20]
	v_cmp_gt_i32_e32 vcc, 32, v24
	v_cndmask_b32_e32 v20, 0, v20, vcc
	v_cndmask_b32_e32 v19, 3, v19, vcc
	v_min_i32_e32 v2, 31, v24
	v_cmp_eq_u64_e64 s[18:19], 0, v[19:20]
	v_lshlrev_b32_e32 v2, 2, v2
	v_cmp_eq_u32_e32 vcc, 0, v24
	v_and_b32_e32 v2, 0xfc, v2
	v_and_or_b32 v2, v19, 3, v2
	s_and_b64 s[18:19], vcc, s[18:19]
	v_cndmask_b32_e64 v2, v2, 0, s[18:19]
	v_or_b32_e32 v24, v2, v0
.LBB4_724:                              ;   in Loop: Header=BB4_350 Depth=3
	s_or_b64 exec, exec, s[78:79]
                                        ; implicit-def: $vgpr0
.LBB4_725:                              ;   in Loop: Header=BB4_350 Depth=3
	s_andn2_saveexec_b64 s[18:19], s[76:77]
; %bb.726:                              ;   in Loop: Header=BB4_350 Depth=3
	v_or_b32_e32 v24, 0x7b, v0
; %bb.727:                              ;   in Loop: Header=BB4_350 Depth=3
	s_or_b64 exec, exec, s[18:19]
                                        ; implicit-def: $vgpr19
.LBB4_728:                              ;   in Loop: Header=BB4_350 Depth=3
	s_andn2_saveexec_b64 s[18:19], s[74:75]
	s_cbranch_execz .LBB4_734
; %bb.729:                              ;   in Loop: Header=BB4_350 Depth=3
	v_cmp_ne_u64_e32 vcc, 0, v[2:3]
                                        ; implicit-def: $vgpr24
	s_and_saveexec_b64 s[74:75], vcc
	s_xor_b64 s[74:75], exec, s[74:75]
; %bb.730:                              ;   in Loop: Header=BB4_350 Depth=3
	v_or_b32_sdwa v24, v19, s50 dst_sel:DWORD dst_unused:UNUSED_PAD src0_sel:BYTE_3 src1_sel:DWORD
                                        ; implicit-def: $vgpr19
; %bb.731:                              ;   in Loop: Header=BB4_350 Depth=3
	s_andn2_saveexec_b64 s[74:75], s[74:75]
; %bb.732:                              ;   in Loop: Header=BB4_350 Depth=3
	v_cmp_lt_i32_e32 vcc, -1, v19
	v_cndmask_b32_e32 v24, v49, v11, vcc
; %bb.733:                              ;   in Loop: Header=BB4_350 Depth=3
	s_or_b64 exec, exec, s[74:75]
.LBB4_734:                              ;   in Loop: Header=BB4_350 Depth=3
	s_or_b64 exec, exec, s[18:19]
	v_cmp_ne_u16_sdwa s[74:75], v21, v3 src0_sel:BYTE_0 src1_sel:DWORD
	v_mov_b32_e32 v20, 0
	v_mov_b32_e32 v19, 0
	s_and_saveexec_b64 s[18:19], s[74:75]
	s_cbranch_execz .LBB4_742
; %bb.735:                              ;   in Loop: Header=BB4_350 Depth=3
	v_cmp_ne_u16_sdwa s[76:77], sext(v21), s38 src0_sel:BYTE_0 src1_sel:DWORD
	v_bfrev_b32_e32 v19, 1
	s_and_saveexec_b64 s[74:75], s[76:77]
	s_cbranch_execz .LBB4_741
; %bb.736:                              ;   in Loop: Header=BB4_350 Depth=3
	v_and_b32_e32 v2, 0x7c, v21
	v_and_b32_e32 v0, 3, v21
	v_cmp_ne_u32_e32 vcc, s39, v2
                                        ; implicit-def: $vgpr19
	s_and_saveexec_b64 s[76:77], vcc
	s_xor_b64 s[76:77], exec, s[76:77]
	s_cbranch_execz .LBB4_738
; %bb.737:                              ;   in Loop: Header=BB4_350 Depth=3
	v_ffbh_u32_e32 v19, v0
	v_min_u32_e32 v19, 32, v19
	v_bfe_u32 v2, v21, 2, 5
	v_subrev_u32_e32 v27, 29, v19
	v_lshlrev_b64 v[27:28], v27, v[21:22]
	v_sub_u32_e32 v19, 30, v19
	v_cmp_eq_u32_e32 vcc, 0, v2
	v_cndmask_b32_e32 v2, v2, v19, vcc
	v_lshlrev_b32_e32 v19, 24, v21
	v_and_b32_e32 v22, 3, v27
	v_and_b32_e32 v19, 0x80000000, v19
	v_cndmask_b32_e32 v0, v0, v22, vcc
	v_lshl_add_u32 v2, v2, 23, v19
	v_lshl_or_b32 v0, v0, 21, v2
	v_add_u32_e32 v19, 0x38000000, v0
                                        ; implicit-def: $vgpr0
.LBB4_738:                              ;   in Loop: Header=BB4_350 Depth=3
	s_andn2_saveexec_b64 s[76:77], s[76:77]
; %bb.739:                              ;   in Loop: Header=BB4_350 Depth=3
	v_cmp_gt_i16_sdwa vcc, sext(v21), v7 src0_sel:BYTE_0 src1_sel:DWORD
	v_cndmask_b32_e32 v2, v8, v54, vcc
	v_cmp_eq_u32_e32 vcc, 0, v0
	v_cndmask_b32_e32 v19, v55, v2, vcc
; %bb.740:                              ;   in Loop: Header=BB4_350 Depth=3
	s_or_b64 exec, exec, s[76:77]
.LBB4_741:                              ;   in Loop: Header=BB4_350 Depth=3
	s_or_b64 exec, exec, s[74:75]
.LBB4_742:                              ;   in Loop: Header=BB4_350 Depth=3
	s_or_b64 exec, exec, s[18:19]
	v_lshlrev_b32_e32 v2, 24, v36
	v_lshlrev_b32_e32 v22, 16, v23
	v_lshl_or_b32 v0, v57, 8, v59
	v_or3_b32 v2, v22, v2, v0
	v_cmp_ne_u32_e32 vcc, 0, v59
	s_and_saveexec_b64 s[74:75], vcc
	s_cbranch_execz .LBB4_750
; %bb.743:                              ;   in Loop: Header=BB4_350 Depth=3
	v_cmp_ne_u32_e32 vcc, s48, v59
	v_bfrev_b32_e32 v20, 1
	s_and_saveexec_b64 s[76:77], vcc
	s_cbranch_execz .LBB4_749
; %bb.744:                              ;   in Loop: Header=BB4_350 Depth=3
	v_and_b32_e32 v20, 0x7c, v59
	v_and_b32_e32 v22, 3, v59
	v_cmp_ne_u32_e32 vcc, s39, v20
                                        ; implicit-def: $vgpr20
	s_and_saveexec_b64 s[18:19], vcc
	s_xor_b64 s[18:19], exec, s[18:19]
	s_cbranch_execz .LBB4_746
; %bb.745:                              ;   in Loop: Header=BB4_350 Depth=3
	v_ffbh_u32_e32 v23, v22
	v_min_u32_e32 v23, 32, v23
	v_bfe_u32 v20, v59, 2, 5
	v_subrev_u32_e32 v27, 29, v23
	v_lshlrev_b64 v[27:28], v27, v[2:3]
	v_sub_u32_e32 v23, 30, v23
	v_cmp_eq_u32_e32 vcc, 0, v20
	v_cndmask_b32_e32 v20, v20, v23, vcc
	v_lshlrev_b32_e32 v23, 24, v59
	v_and_b32_e32 v27, 3, v27
	v_and_b32_e32 v23, 0x80000000, v23
	v_cndmask_b32_e32 v22, v22, v27, vcc
	v_lshl_add_u32 v20, v20, 23, v23
	v_lshl_or_b32 v20, v22, 21, v20
	v_add_u32_e32 v20, 0x38000000, v20
                                        ; implicit-def: $vgpr22
                                        ; implicit-def: $vgpr59
.LBB4_746:                              ;   in Loop: Header=BB4_350 Depth=3
	s_andn2_saveexec_b64 s[78:79], s[18:19]
; %bb.747:                              ;   in Loop: Header=BB4_350 Depth=3
	v_and_b32_e32 v20, 0x80, v59
	v_cmp_eq_u32_e64 s[18:19], 0, v20
	v_cmp_eq_u32_e32 vcc, 0, v22
	v_cndmask_b32_e64 v20, v8, v54, s[18:19]
	v_cndmask_b32_e32 v20, v55, v20, vcc
; %bb.748:                              ;   in Loop: Header=BB4_350 Depth=3
	s_or_b64 exec, exec, s[78:79]
.LBB4_749:                              ;   in Loop: Header=BB4_350 Depth=3
	s_or_b64 exec, exec, s[76:77]
.LBB4_750:                              ;   in Loop: Header=BB4_350 Depth=3
	s_or_b64 exec, exec, s[74:75]
	v_add_f32_e32 v27, v19, v20
	v_and_b32_e32 v22, 0x7f800000, v27
	v_mov_b32_e32 v23, v3
	v_cmp_ne_u64_e32 vcc, s[56:57], v[22:23]
	v_and_b32_e32 v19, 0x7fffff, v27
	v_mov_b32_e32 v20, v3
                                        ; implicit-def: $vgpr22
	s_and_saveexec_b64 s[18:19], vcc
	s_xor_b64 s[74:75], exec, s[18:19]
	s_cbranch_execz .LBB4_764
; %bb.751:                              ;   in Loop: Header=BB4_350 Depth=3
	v_and_b32_e32 v22, 0x7fffffff, v27
	v_mov_b32_e32 v23, v3
	v_cmp_gt_u64_e32 vcc, s[58:59], v[22:23]
	v_and_b32_sdwa v23, v27, s48 dst_sel:DWORD dst_unused:UNUSED_PAD src0_sel:BYTE_3 src1_sel:DWORD
                                        ; implicit-def: $vgpr22
	s_and_saveexec_b64 s[18:19], vcc
	s_xor_b64 s[76:77], exec, s[18:19]
	s_cbranch_execz .LBB4_761
; %bb.752:                              ;   in Loop: Header=BB4_350 Depth=3
	v_mov_b32_e32 v22, 0
	v_cmp_ne_u32_e32 vcc, 0, v27
	s_and_saveexec_b64 s[78:79], vcc
	s_cbranch_execz .LBB4_760
; %bb.753:                              ;   in Loop: Header=BB4_350 Depth=3
	v_bfe_u32 v22, v27, 23, 8
	v_cmp_gt_u32_e64 s[18:19], s49, v22
	v_sub_u32_e32 v27, 0x71, v22
	v_cmp_eq_u32_e32 vcc, 0, v22
	v_cndmask_b32_e64 v27, 0, v27, s[18:19]
	v_cndmask_b32_e32 v36, v27, v12, vcc
	v_or_b32_e32 v28, 0x800000, v19
	v_add_u32_e32 v27, 21, v36
	v_cndmask_b32_e32 v19, v28, v19, vcc
	v_lshlrev_b64 v[27:28], v27, -1
	v_add_u32_e32 v37, 20, v36
	v_bfi_b32 v27, v27, 0, v19
	v_lshlrev_b64 v[37:38], v37, 1
	v_lshrrev_b64 v[19:20], v36, v[19:20]
	v_bfi_b32 v28, v28, 0, 0
	v_cmp_eq_u64_e64 s[18:19], v[27:28], v[37:38]
	v_mov_b32_e32 v28, v20
	v_mov_b32_e32 v27, v19
	s_and_saveexec_b64 s[88:89], s[18:19]
; %bb.754:                              ;   in Loop: Header=BB4_350 Depth=3
	v_bfe_u32 v20, v19, 21, 1
	v_add_co_u32_e64 v20, s[18:19], v19, v20
	v_add_co_u32_e64 v27, s[18:19], -1, v20
; %bb.755:                              ;   in Loop: Header=BB4_350 Depth=3
	s_or_b64 exec, exec, s[88:89]
	v_add_u32_e32 v20, 0xffffff81, v22
	v_cndmask_b32_e32 v20, v20, v48, vcc
	v_lshrrev_b32_e32 v22, 23, v19
	v_add3_u32 v36, v36, v20, v22
	v_add_u32_e32 v28, 14, v36
	v_and_b32_e32 v20, 0x1fffff, v27
	v_add_u32_e32 v19, v20, v19
	v_mov_b32_e32 v20, v3
	v_cmp_ne_u32_e32 vcc, 0, v28
                                        ; implicit-def: $vgpr22
	s_and_saveexec_b64 s[18:19], vcc
	s_xor_b64 s[18:19], exec, s[18:19]
; %bb.756:                              ;   in Loop: Header=BB4_350 Depth=3
	v_cmp_lt_u64_e32 vcc, s[60:61], v[19:20]
	v_add_u32_e32 v22, 15, v36
	v_cndmask_b32_e64 v27, 0, 1, vcc
	v_cndmask_b32_e32 v22, v28, v22, vcc
	v_lshrrev_b64 v[19:20], v27, v[19:20]
; %bb.757:                              ;   in Loop: Header=BB4_350 Depth=3
	s_andn2_saveexec_b64 s[18:19], s[18:19]
; %bb.758:                              ;   in Loop: Header=BB4_350 Depth=3
	v_bfe_u32 v22, v19, 23, 1
; %bb.759:                              ;   in Loop: Header=BB4_350 Depth=3
	s_or_b64 exec, exec, s[18:19]
	v_lshrrev_b64 v[19:20], 21, v[19:20]
	v_cmp_gt_i32_e32 vcc, 32, v22
	v_cndmask_b32_e32 v20, 0, v20, vcc
	v_cndmask_b32_e32 v19, 3, v19, vcc
	v_cmp_eq_u64_e64 s[18:19], 0, v[19:20]
	v_min_i32_e32 v20, 31, v22
	v_lshlrev_b32_e32 v20, 2, v20
	v_cmp_eq_u32_e32 vcc, 0, v22
	v_and_b32_e32 v20, 0xfc, v20
	v_and_or_b32 v19, v19, 3, v20
	s_and_b64 s[18:19], vcc, s[18:19]
	v_cndmask_b32_e64 v19, v19, 0, s[18:19]
	v_or_b32_e32 v22, v19, v23
.LBB4_760:                              ;   in Loop: Header=BB4_350 Depth=3
	s_or_b64 exec, exec, s[78:79]
                                        ; implicit-def: $vgpr23
.LBB4_761:                              ;   in Loop: Header=BB4_350 Depth=3
	s_andn2_saveexec_b64 s[18:19], s[76:77]
; %bb.762:                              ;   in Loop: Header=BB4_350 Depth=3
	v_or_b32_e32 v22, 0x7b, v23
; %bb.763:                              ;   in Loop: Header=BB4_350 Depth=3
	s_or_b64 exec, exec, s[18:19]
                                        ; implicit-def: $vgpr27
                                        ; implicit-def: $vgpr19_vgpr20
.LBB4_764:                              ;   in Loop: Header=BB4_350 Depth=3
	s_andn2_saveexec_b64 s[18:19], s[74:75]
	s_cbranch_execz .LBB4_770
; %bb.765:                              ;   in Loop: Header=BB4_350 Depth=3
	v_cmp_ne_u64_e32 vcc, 0, v[19:20]
                                        ; implicit-def: $vgpr22
	s_and_saveexec_b64 s[74:75], vcc
	s_xor_b64 s[74:75], exec, s[74:75]
; %bb.766:                              ;   in Loop: Header=BB4_350 Depth=3
	v_or_b32_sdwa v22, v27, s50 dst_sel:DWORD dst_unused:UNUSED_PAD src0_sel:BYTE_3 src1_sel:DWORD
                                        ; implicit-def: $vgpr27
; %bb.767:                              ;   in Loop: Header=BB4_350 Depth=3
	s_andn2_saveexec_b64 s[74:75], s[74:75]
; %bb.768:                              ;   in Loop: Header=BB4_350 Depth=3
	v_cmp_lt_i32_e32 vcc, -1, v27
	v_cndmask_b32_e32 v22, v49, v11, vcc
; %bb.769:                              ;   in Loop: Header=BB4_350 Depth=3
	s_or_b64 exec, exec, s[74:75]
.LBB4_770:                              ;   in Loop: Header=BB4_350 Depth=3
	s_or_b64 exec, exec, s[18:19]
	v_lshrrev_b16_e32 v19, 8, v21
	v_cmp_ne_u16_e32 vcc, 0, v19
	v_mov_b32_e32 v23, 0
	v_mov_b32_e32 v27, 0
	s_and_saveexec_b64 s[18:19], vcc
	s_cbranch_execz .LBB4_778
; %bb.771:                              ;   in Loop: Header=BB4_350 Depth=3
	v_cmp_ne_u16_e32 vcc, s48, v19
	v_bfrev_b32_e32 v27, 1
	s_and_saveexec_b64 s[74:75], vcc
	s_cbranch_execz .LBB4_777
; %bb.772:                              ;   in Loop: Header=BB4_350 Depth=3
	v_and_b32_e32 v20, 0x7c, v19
	v_and_b32_e32 v28, 3, v19
	v_cmp_ne_u32_e32 vcc, s39, v20
                                        ; implicit-def: $vgpr27
	s_and_saveexec_b64 s[76:77], vcc
	s_xor_b64 s[76:77], exec, s[76:77]
	s_cbranch_execz .LBB4_774
; %bb.773:                              ;   in Loop: Header=BB4_350 Depth=3
	v_ffbh_u32_e32 v36, v28
	v_min_u32_e32 v36, 32, v36
	v_mov_b32_e32 v20, v3
	v_subrev_u32_e32 v37, 29, v36
	v_bfe_u32 v27, v19, 2, 5
	v_lshlrev_b64 v[19:20], v37, v[19:20]
	v_sub_u32_e32 v20, 30, v36
	v_cmp_eq_u32_e32 vcc, 0, v27
	v_cndmask_b32_e32 v20, v27, v20, vcc
	v_lshlrev_b32_e32 v27, 16, v21
	v_and_b32_e32 v19, 3, v19
	v_and_b32_e32 v27, 0x80000000, v27
	v_cndmask_b32_e32 v19, v28, v19, vcc
	v_lshl_add_u32 v20, v20, 23, v27
	v_lshl_or_b32 v19, v19, 21, v20
	v_add_u32_e32 v27, 0x38000000, v19
                                        ; implicit-def: $vgpr28
.LBB4_774:                              ;   in Loop: Header=BB4_350 Depth=3
	s_andn2_saveexec_b64 s[76:77], s[76:77]
; %bb.775:                              ;   in Loop: Header=BB4_350 Depth=3
	v_cmp_lt_i16_e32 vcc, -1, v21
	v_cndmask_b32_e32 v19, v8, v54, vcc
	v_cmp_eq_u32_e32 vcc, 0, v28
	v_cndmask_b32_e32 v27, v55, v19, vcc
; %bb.776:                              ;   in Loop: Header=BB4_350 Depth=3
	s_or_b64 exec, exec, s[76:77]
.LBB4_777:                              ;   in Loop: Header=BB4_350 Depth=3
	s_or_b64 exec, exec, s[74:75]
.LBB4_778:                              ;   in Loop: Header=BB4_350 Depth=3
	s_or_b64 exec, exec, s[18:19]
	v_lshrrev_b16_e32 v19, 8, v0
	v_cmp_ne_u16_e32 vcc, 0, v19
	s_and_saveexec_b64 s[18:19], vcc
	s_cbranch_execz .LBB4_786
; %bb.779:                              ;   in Loop: Header=BB4_350 Depth=3
	v_cmp_ne_u16_e32 vcc, s48, v19
	v_bfrev_b32_e32 v23, 1
	s_and_saveexec_b64 s[74:75], vcc
	s_cbranch_execz .LBB4_785
; %bb.780:                              ;   in Loop: Header=BB4_350 Depth=3
	v_and_b32_e32 v20, 0x7c, v19
	v_and_b32_e32 v28, 3, v19
	v_cmp_ne_u32_e32 vcc, s39, v20
                                        ; implicit-def: $vgpr23
	s_and_saveexec_b64 s[76:77], vcc
	s_xor_b64 s[76:77], exec, s[76:77]
	s_cbranch_execz .LBB4_782
; %bb.781:                              ;   in Loop: Header=BB4_350 Depth=3
	v_ffbh_u32_e32 v36, v28
	v_min_u32_e32 v36, 32, v36
	v_mov_b32_e32 v20, v3
	v_subrev_u32_e32 v37, 29, v36
	v_bfe_u32 v23, v19, 2, 5
	v_lshlrev_b64 v[19:20], v37, v[19:20]
	v_sub_u32_e32 v20, 30, v36
	v_cmp_eq_u32_e32 vcc, 0, v23
	v_lshlrev_b32_e32 v0, 16, v0
	v_and_b32_e32 v19, 3, v19
	v_cndmask_b32_e32 v20, v23, v20, vcc
	v_and_b32_e32 v0, 0x80000000, v0
	v_cndmask_b32_e32 v19, v28, v19, vcc
	v_lshl_add_u32 v0, v20, 23, v0
	v_lshl_or_b32 v0, v19, 21, v0
	v_add_u32_e32 v23, 0x38000000, v0
                                        ; implicit-def: $vgpr28
                                        ; implicit-def: $vgpr0
.LBB4_782:                              ;   in Loop: Header=BB4_350 Depth=3
	s_andn2_saveexec_b64 s[76:77], s[76:77]
; %bb.783:                              ;   in Loop: Header=BB4_350 Depth=3
	v_cmp_lt_i16_e32 vcc, -1, v0
	v_cndmask_b32_e32 v0, v8, v54, vcc
	v_cmp_eq_u32_e32 vcc, 0, v28
	v_cndmask_b32_e32 v23, v55, v0, vcc
; %bb.784:                              ;   in Loop: Header=BB4_350 Depth=3
	s_or_b64 exec, exec, s[76:77]
.LBB4_785:                              ;   in Loop: Header=BB4_350 Depth=3
	s_or_b64 exec, exec, s[74:75]
.LBB4_786:                              ;   in Loop: Header=BB4_350 Depth=3
	s_or_b64 exec, exec, s[18:19]
	v_add_f32_e32 v27, v27, v23
	v_and_b32_e32 v36, 0x7f800000, v27
	v_mov_b32_e32 v37, v3
	v_cmp_ne_u64_e32 vcc, s[56:57], v[36:37]
	v_and_b32_e32 v19, 0x7fffff, v27
	v_mov_b32_e32 v20, v3
                                        ; implicit-def: $vgpr23
	s_and_saveexec_b64 s[18:19], vcc
	s_xor_b64 s[74:75], exec, s[18:19]
	s_cbranch_execz .LBB4_800
; %bb.787:                              ;   in Loop: Header=BB4_350 Depth=3
	v_and_b32_e32 v36, 0x7fffffff, v27
	v_mov_b32_e32 v37, v3
	v_cmp_gt_u64_e32 vcc, s[58:59], v[36:37]
	v_and_b32_sdwa v0, v27, s48 dst_sel:DWORD dst_unused:UNUSED_PAD src0_sel:BYTE_3 src1_sel:DWORD
                                        ; implicit-def: $vgpr23
	s_and_saveexec_b64 s[18:19], vcc
	s_xor_b64 s[76:77], exec, s[18:19]
	s_cbranch_execz .LBB4_797
; %bb.788:                              ;   in Loop: Header=BB4_350 Depth=3
	v_mov_b32_e32 v23, 0
	v_cmp_ne_u32_e32 vcc, 0, v27
	s_and_saveexec_b64 s[78:79], vcc
	s_cbranch_execz .LBB4_796
; %bb.789:                              ;   in Loop: Header=BB4_350 Depth=3
	v_bfe_u32 v23, v27, 23, 8
	v_cmp_gt_u32_e64 s[18:19], s49, v23
	v_sub_u32_e32 v27, 0x71, v23
	v_cmp_eq_u32_e32 vcc, 0, v23
	v_cndmask_b32_e64 v27, 0, v27, s[18:19]
	v_cndmask_b32_e32 v36, v27, v12, vcc
	v_or_b32_e32 v28, 0x800000, v19
	v_add_u32_e32 v27, 21, v36
	v_cndmask_b32_e32 v19, v28, v19, vcc
	v_lshlrev_b64 v[27:28], v27, -1
	v_add_u32_e32 v37, 20, v36
	v_bfi_b32 v27, v27, 0, v19
	v_lshlrev_b64 v[37:38], v37, 1
	v_lshrrev_b64 v[19:20], v36, v[19:20]
	v_bfi_b32 v28, v28, 0, 0
	v_cmp_eq_u64_e64 s[18:19], v[27:28], v[37:38]
	v_mov_b32_e32 v28, v20
	v_mov_b32_e32 v27, v19
	s_and_saveexec_b64 s[88:89], s[18:19]
; %bb.790:                              ;   in Loop: Header=BB4_350 Depth=3
	v_bfe_u32 v20, v19, 21, 1
	v_add_co_u32_e64 v20, s[18:19], v19, v20
	v_add_co_u32_e64 v27, s[18:19], -1, v20
; %bb.791:                              ;   in Loop: Header=BB4_350 Depth=3
	s_or_b64 exec, exec, s[88:89]
	v_add_u32_e32 v20, 0xffffff81, v23
	v_cndmask_b32_e32 v20, v20, v48, vcc
	v_lshrrev_b32_e32 v23, 23, v19
	v_add3_u32 v36, v36, v20, v23
	v_add_u32_e32 v28, 14, v36
	v_and_b32_e32 v20, 0x1fffff, v27
	v_add_u32_e32 v19, v20, v19
	v_mov_b32_e32 v20, v3
	v_cmp_ne_u32_e32 vcc, 0, v28
                                        ; implicit-def: $vgpr23
	s_and_saveexec_b64 s[18:19], vcc
	s_xor_b64 s[18:19], exec, s[18:19]
; %bb.792:                              ;   in Loop: Header=BB4_350 Depth=3
	v_cmp_lt_u64_e32 vcc, s[60:61], v[19:20]
	v_add_u32_e32 v23, 15, v36
	v_cndmask_b32_e64 v27, 0, 1, vcc
	v_cndmask_b32_e32 v23, v28, v23, vcc
	v_lshrrev_b64 v[19:20], v27, v[19:20]
; %bb.793:                              ;   in Loop: Header=BB4_350 Depth=3
	s_andn2_saveexec_b64 s[18:19], s[18:19]
; %bb.794:                              ;   in Loop: Header=BB4_350 Depth=3
	v_bfe_u32 v23, v19, 23, 1
; %bb.795:                              ;   in Loop: Header=BB4_350 Depth=3
	s_or_b64 exec, exec, s[18:19]
	v_lshrrev_b64 v[19:20], 21, v[19:20]
	v_cmp_gt_i32_e32 vcc, 32, v23
	v_cndmask_b32_e32 v20, 0, v20, vcc
	v_cndmask_b32_e32 v19, 3, v19, vcc
	v_cmp_eq_u64_e64 s[18:19], 0, v[19:20]
	v_min_i32_e32 v20, 31, v23
	v_lshlrev_b32_e32 v20, 2, v20
	v_cmp_eq_u32_e32 vcc, 0, v23
	v_and_b32_e32 v20, 0xfc, v20
	v_and_or_b32 v19, v19, 3, v20
	s_and_b64 s[18:19], vcc, s[18:19]
	v_cndmask_b32_e64 v19, v19, 0, s[18:19]
	v_or_b32_e32 v23, v19, v0
.LBB4_796:                              ;   in Loop: Header=BB4_350 Depth=3
	s_or_b64 exec, exec, s[78:79]
                                        ; implicit-def: $vgpr0
.LBB4_797:                              ;   in Loop: Header=BB4_350 Depth=3
	s_andn2_saveexec_b64 s[18:19], s[76:77]
; %bb.798:                              ;   in Loop: Header=BB4_350 Depth=3
	v_or_b32_e32 v23, 0x7b, v0
; %bb.799:                              ;   in Loop: Header=BB4_350 Depth=3
	s_or_b64 exec, exec, s[18:19]
                                        ; implicit-def: $vgpr27
                                        ; implicit-def: $vgpr19_vgpr20
.LBB4_800:                              ;   in Loop: Header=BB4_350 Depth=3
	s_andn2_saveexec_b64 s[18:19], s[74:75]
	s_cbranch_execz .LBB4_806
; %bb.801:                              ;   in Loop: Header=BB4_350 Depth=3
	v_cmp_ne_u64_e32 vcc, 0, v[19:20]
                                        ; implicit-def: $vgpr23
	s_and_saveexec_b64 s[74:75], vcc
	s_xor_b64 s[74:75], exec, s[74:75]
; %bb.802:                              ;   in Loop: Header=BB4_350 Depth=3
	v_or_b32_sdwa v23, v27, s50 dst_sel:DWORD dst_unused:UNUSED_PAD src0_sel:BYTE_3 src1_sel:DWORD
                                        ; implicit-def: $vgpr27
; %bb.803:                              ;   in Loop: Header=BB4_350 Depth=3
	s_andn2_saveexec_b64 s[74:75], s[74:75]
; %bb.804:                              ;   in Loop: Header=BB4_350 Depth=3
	v_cmp_lt_i32_e32 vcc, -1, v27
	v_cndmask_b32_e32 v23, v49, v11, vcc
; %bb.805:                              ;   in Loop: Header=BB4_350 Depth=3
	s_or_b64 exec, exec, s[74:75]
.LBB4_806:                              ;   in Loop: Header=BB4_350 Depth=3
	s_or_b64 exec, exec, s[18:19]
	v_lshrrev_b32_e32 v0, 16, v21
	v_cmp_ne_u16_sdwa s[74:75], v0, v3 src0_sel:BYTE_0 src1_sel:DWORD
	v_mov_b32_e32 v19, 0
	v_mov_b32_e32 v20, 0
	s_and_saveexec_b64 s[18:19], s[74:75]
	s_cbranch_execz .LBB4_814
; %bb.807:                              ;   in Loop: Header=BB4_350 Depth=3
	v_cmp_ne_u16_sdwa s[76:77], v0, s48 src0_sel:BYTE_0 src1_sel:DWORD
	v_bfrev_b32_e32 v20, 1
	s_and_saveexec_b64 s[74:75], s[76:77]
	s_cbranch_execz .LBB4_813
; %bb.808:                              ;   in Loop: Header=BB4_350 Depth=3
	v_and_b32_e32 v20, 0x7c0000, v21
	v_bfe_u32 v27, v21, 16, 2
	v_cmp_ne_u32_e32 vcc, s51, v20
                                        ; implicit-def: $vgpr20
	s_and_saveexec_b64 s[76:77], vcc
	s_xor_b64 s[76:77], exec, s[76:77]
	s_cbranch_execz .LBB4_810
; %bb.809:                              ;   in Loop: Header=BB4_350 Depth=3
	v_ffbh_u32_e32 v28, v27
	v_min_u32_e32 v28, 32, v28
	v_subrev_u32_e32 v36, 29, v28
	v_lshlrev_b64 v[36:37], v36, v[0:1]
	v_bfe_u32 v20, v21, 18, 5
	v_sub_u32_e32 v0, 30, v28
	v_and_b32_e32 v28, 3, v36
	v_cmp_eq_u32_e32 vcc, 0, v20
	v_cndmask_b32_e32 v0, v20, v0, vcc
	v_cndmask_b32_e32 v20, v27, v28, vcc
	v_lshlrev_b32_e32 v27, 8, v21
	v_and_b32_e32 v27, 0x80000000, v27
	v_lshl_add_u32 v0, v0, 23, v27
	v_lshl_or_b32 v0, v20, 21, v0
	v_add_u32_e32 v20, 0x38000000, v0
                                        ; implicit-def: $vgpr27
                                        ; implicit-def: $vgpr0
.LBB4_810:                              ;   in Loop: Header=BB4_350 Depth=3
	s_andn2_saveexec_b64 s[76:77], s[76:77]
; %bb.811:                              ;   in Loop: Header=BB4_350 Depth=3
	v_cmp_gt_i16_sdwa vcc, sext(v0), v7 src0_sel:BYTE_0 src1_sel:DWORD
	v_cndmask_b32_e32 v0, v8, v54, vcc
	v_cmp_eq_u32_e32 vcc, 0, v27
	v_cndmask_b32_e32 v20, v55, v0, vcc
; %bb.812:                              ;   in Loop: Header=BB4_350 Depth=3
	s_or_b64 exec, exec, s[76:77]
.LBB4_813:                              ;   in Loop: Header=BB4_350 Depth=3
	s_or_b64 exec, exec, s[74:75]
.LBB4_814:                              ;   in Loop: Header=BB4_350 Depth=3
	s_or_b64 exec, exec, s[18:19]
	v_and_b32_sdwa v27, v2, s37 dst_sel:DWORD dst_unused:UNUSED_PAD src0_sel:WORD_1 src1_sel:DWORD
	v_lshrrev_b32_e32 v0, 16, v2
	v_cmp_ne_u16_e32 vcc, 0, v27
	s_and_saveexec_b64 s[18:19], vcc
	s_cbranch_execz .LBB4_822
; %bb.815:                              ;   in Loop: Header=BB4_350 Depth=3
	v_cmp_ne_u16_e32 vcc, s48, v27
	v_bfrev_b32_e32 v19, 1
	s_and_saveexec_b64 s[74:75], vcc
	s_cbranch_execz .LBB4_821
; %bb.816:                              ;   in Loop: Header=BB4_350 Depth=3
	v_and_b32_e32 v19, 0x7c0000, v2
	v_bfe_u32 v27, v2, 16, 2
	v_cmp_ne_u32_e32 vcc, s51, v19
                                        ; implicit-def: $vgpr19
	s_and_saveexec_b64 s[76:77], vcc
	s_xor_b64 s[76:77], exec, s[76:77]
	s_cbranch_execz .LBB4_818
; %bb.817:                              ;   in Loop: Header=BB4_350 Depth=3
	v_ffbh_u32_e32 v28, v27
	v_min_u32_e32 v28, 32, v28
	v_subrev_u32_e32 v36, 29, v28
	v_lshlrev_b64 v[36:37], v36, v[0:1]
	v_bfe_u32 v19, v2, 18, 5
	v_sub_u32_e32 v0, 30, v28
	v_and_b32_e32 v28, 3, v36
	v_cmp_eq_u32_e32 vcc, 0, v19
	v_cndmask_b32_e32 v0, v19, v0, vcc
	v_cndmask_b32_e32 v19, v27, v28, vcc
	v_lshlrev_b32_e32 v27, 8, v2
	v_and_b32_e32 v27, 0x80000000, v27
	v_lshl_add_u32 v0, v0, 23, v27
	v_lshl_or_b32 v0, v19, 21, v0
	v_add_u32_e32 v19, 0x38000000, v0
                                        ; implicit-def: $vgpr27
                                        ; implicit-def: $vgpr0
.LBB4_818:                              ;   in Loop: Header=BB4_350 Depth=3
	s_andn2_saveexec_b64 s[76:77], s[76:77]
; %bb.819:                              ;   in Loop: Header=BB4_350 Depth=3
	v_cmp_gt_i16_sdwa vcc, sext(v0), v7 src0_sel:BYTE_0 src1_sel:DWORD
	v_cndmask_b32_e32 v0, v8, v54, vcc
	v_cmp_eq_u32_e32 vcc, 0, v27
	v_cndmask_b32_e32 v19, v55, v0, vcc
; %bb.820:                              ;   in Loop: Header=BB4_350 Depth=3
	s_or_b64 exec, exec, s[76:77]
.LBB4_821:                              ;   in Loop: Header=BB4_350 Depth=3
	s_or_b64 exec, exec, s[74:75]
.LBB4_822:                              ;   in Loop: Header=BB4_350 Depth=3
	s_or_b64 exec, exec, s[18:19]
	v_add_f32_e32 v28, v20, v19
	v_and_b32_e32 v36, 0x7f800000, v28
	v_mov_b32_e32 v37, v3
	v_cmp_ne_u64_e32 vcc, s[56:57], v[36:37]
	v_and_b32_e32 v19, 0x7fffff, v28
	v_mov_b32_e32 v20, v3
                                        ; implicit-def: $vgpr27
	s_and_saveexec_b64 s[18:19], vcc
	s_xor_b64 s[74:75], exec, s[18:19]
	s_cbranch_execz .LBB4_836
; %bb.823:                              ;   in Loop: Header=BB4_350 Depth=3
	v_and_b32_e32 v36, 0x7fffffff, v28
	v_mov_b32_e32 v37, v3
	v_cmp_gt_u64_e32 vcc, s[58:59], v[36:37]
	v_and_b32_sdwa v0, v28, s48 dst_sel:DWORD dst_unused:UNUSED_PAD src0_sel:BYTE_3 src1_sel:DWORD
                                        ; implicit-def: $vgpr27
	s_and_saveexec_b64 s[18:19], vcc
	s_xor_b64 s[76:77], exec, s[18:19]
	s_cbranch_execz .LBB4_833
; %bb.824:                              ;   in Loop: Header=BB4_350 Depth=3
	v_mov_b32_e32 v27, 0
	v_cmp_ne_u32_e32 vcc, 0, v28
	s_and_saveexec_b64 s[78:79], vcc
	s_cbranch_execz .LBB4_832
; %bb.825:                              ;   in Loop: Header=BB4_350 Depth=3
	v_bfe_u32 v36, v28, 23, 8
	v_cmp_gt_u32_e64 s[18:19], s49, v36
	v_sub_u32_e32 v27, 0x71, v36
	v_cmp_eq_u32_e32 vcc, 0, v36
	v_cndmask_b32_e64 v27, 0, v27, s[18:19]
	v_cndmask_b32_e32 v37, v27, v12, vcc
	v_or_b32_e32 v28, 0x800000, v19
	v_add_u32_e32 v27, 21, v37
	v_cndmask_b32_e32 v19, v28, v19, vcc
	v_lshlrev_b64 v[27:28], v27, -1
	v_add_u32_e32 v38, 20, v37
	v_bfi_b32 v27, v27, 0, v19
	v_lshlrev_b64 v[38:39], v38, 1
	v_lshrrev_b64 v[19:20], v37, v[19:20]
	v_bfi_b32 v28, v28, 0, 0
	v_cmp_eq_u64_e64 s[18:19], v[27:28], v[38:39]
	v_mov_b32_e32 v28, v20
	v_mov_b32_e32 v27, v19
	s_and_saveexec_b64 s[88:89], s[18:19]
; %bb.826:                              ;   in Loop: Header=BB4_350 Depth=3
	v_bfe_u32 v20, v19, 21, 1
	v_add_co_u32_e64 v20, s[18:19], v19, v20
	v_add_co_u32_e64 v27, s[18:19], -1, v20
; %bb.827:                              ;   in Loop: Header=BB4_350 Depth=3
	s_or_b64 exec, exec, s[88:89]
	v_add_u32_e32 v20, 0xffffff81, v36
	v_cndmask_b32_e32 v20, v20, v48, vcc
	v_lshrrev_b32_e32 v28, 23, v19
	v_add3_u32 v36, v37, v20, v28
	v_add_u32_e32 v28, 14, v36
	v_and_b32_e32 v20, 0x1fffff, v27
	v_add_u32_e32 v19, v20, v19
	v_mov_b32_e32 v20, v3
	v_cmp_ne_u32_e32 vcc, 0, v28
                                        ; implicit-def: $vgpr27
	s_and_saveexec_b64 s[18:19], vcc
	s_xor_b64 s[18:19], exec, s[18:19]
; %bb.828:                              ;   in Loop: Header=BB4_350 Depth=3
	v_cmp_lt_u64_e32 vcc, s[60:61], v[19:20]
	v_add_u32_e32 v27, 15, v36
	v_cndmask_b32_e32 v27, v28, v27, vcc
	v_cndmask_b32_e64 v28, 0, 1, vcc
	v_lshrrev_b64 v[19:20], v28, v[19:20]
; %bb.829:                              ;   in Loop: Header=BB4_350 Depth=3
	s_andn2_saveexec_b64 s[18:19], s[18:19]
; %bb.830:                              ;   in Loop: Header=BB4_350 Depth=3
	v_bfe_u32 v27, v19, 23, 1
; %bb.831:                              ;   in Loop: Header=BB4_350 Depth=3
	s_or_b64 exec, exec, s[18:19]
	v_lshrrev_b64 v[19:20], 21, v[19:20]
	v_cmp_gt_i32_e32 vcc, 32, v27
	v_cndmask_b32_e32 v20, 0, v20, vcc
	v_cndmask_b32_e32 v19, 3, v19, vcc
	v_cmp_eq_u64_e64 s[18:19], 0, v[19:20]
	v_min_i32_e32 v20, 31, v27
	v_lshlrev_b32_e32 v20, 2, v20
	v_cmp_eq_u32_e32 vcc, 0, v27
	v_and_b32_e32 v20, 0xfc, v20
	v_and_or_b32 v19, v19, 3, v20
	s_and_b64 s[18:19], vcc, s[18:19]
	v_cndmask_b32_e64 v19, v19, 0, s[18:19]
	v_or_b32_e32 v27, v19, v0
.LBB4_832:                              ;   in Loop: Header=BB4_350 Depth=3
	s_or_b64 exec, exec, s[78:79]
                                        ; implicit-def: $vgpr0
.LBB4_833:                              ;   in Loop: Header=BB4_350 Depth=3
	s_andn2_saveexec_b64 s[18:19], s[76:77]
; %bb.834:                              ;   in Loop: Header=BB4_350 Depth=3
	v_or_b32_e32 v27, 0x7b, v0
; %bb.835:                              ;   in Loop: Header=BB4_350 Depth=3
	s_or_b64 exec, exec, s[18:19]
                                        ; implicit-def: $vgpr28
                                        ; implicit-def: $vgpr19_vgpr20
.LBB4_836:                              ;   in Loop: Header=BB4_350 Depth=3
	s_andn2_saveexec_b64 s[18:19], s[74:75]
	s_cbranch_execz .LBB4_842
; %bb.837:                              ;   in Loop: Header=BB4_350 Depth=3
	v_cmp_ne_u64_e32 vcc, 0, v[19:20]
                                        ; implicit-def: $vgpr27
	s_and_saveexec_b64 s[74:75], vcc
	s_xor_b64 s[74:75], exec, s[74:75]
; %bb.838:                              ;   in Loop: Header=BB4_350 Depth=3
	v_or_b32_sdwa v27, v28, s50 dst_sel:DWORD dst_unused:UNUSED_PAD src0_sel:BYTE_3 src1_sel:DWORD
                                        ; implicit-def: $vgpr28
; %bb.839:                              ;   in Loop: Header=BB4_350 Depth=3
	s_andn2_saveexec_b64 s[74:75], s[74:75]
; %bb.840:                              ;   in Loop: Header=BB4_350 Depth=3
	v_cmp_lt_i32_e32 vcc, -1, v28
	v_cndmask_b32_e32 v27, v49, v11, vcc
; %bb.841:                              ;   in Loop: Header=BB4_350 Depth=3
	s_or_b64 exec, exec, s[74:75]
.LBB4_842:                              ;   in Loop: Header=BB4_350 Depth=3
	s_or_b64 exec, exec, s[18:19]
	v_mov_b32_e32 v20, v3
	v_cmp_lt_u64_e32 vcc, s[46:47], v[20:21]
	v_mov_b32_e32 v19, 0
	v_mov_b32_e32 v28, 0
	s_and_saveexec_b64 s[18:19], vcc
	s_cbranch_execz .LBB4_850
; %bb.843:                              ;   in Loop: Header=BB4_350 Depth=3
	v_lshrrev_b32_e32 v0, 24, v21
	v_cmp_ne_u32_e32 vcc, s48, v0
	v_bfrev_b32_e32 v28, 1
	s_and_saveexec_b64 s[74:75], vcc
	s_cbranch_execz .LBB4_849
; %bb.844:                              ;   in Loop: Header=BB4_350 Depth=3
	v_and_b32_e32 v28, 0x7c000000, v21
	v_bfe_u32 v36, v21, 24, 2
	v_cmp_ne_u32_e32 vcc, s52, v28
                                        ; implicit-def: $vgpr28
	s_and_saveexec_b64 s[76:77], vcc
	s_xor_b64 s[76:77], exec, s[76:77]
	s_cbranch_execz .LBB4_846
; %bb.845:                              ;   in Loop: Header=BB4_350 Depth=3
	v_ffbh_u32_e32 v28, v36
	v_min_u32_e32 v28, 32, v28
	v_subrev_u32_e32 v37, 29, v28
	v_bfe_u32 v20, v21, 26, 5
	v_lshlrev_b64 v[37:38], v37, v[0:1]
	v_sub_u32_e32 v0, 30, v28
	v_cmp_eq_u32_e32 vcc, 0, v20
	v_and_b32_e32 v28, 3, v37
	v_cndmask_b32_e32 v0, v20, v0, vcc
	v_and_b32_e32 v21, 0x80000000, v21
	v_cndmask_b32_e32 v20, v36, v28, vcc
	v_lshl_add_u32 v0, v0, 23, v21
	v_lshl_or_b32 v0, v20, 21, v0
	v_add_u32_e32 v28, 0x38000000, v0
                                        ; implicit-def: $vgpr36
                                        ; implicit-def: $vgpr20_vgpr21
.LBB4_846:                              ;   in Loop: Header=BB4_350 Depth=3
	s_andn2_saveexec_b64 s[76:77], s[76:77]
; %bb.847:                              ;   in Loop: Header=BB4_350 Depth=3
	v_cmp_lt_i64_e32 vcc, -1, v[20:21]
	v_cndmask_b32_e32 v0, v8, v54, vcc
	v_cmp_eq_u32_e32 vcc, 0, v36
	v_cndmask_b32_e32 v28, v55, v0, vcc
; %bb.848:                              ;   in Loop: Header=BB4_350 Depth=3
	s_or_b64 exec, exec, s[76:77]
.LBB4_849:                              ;   in Loop: Header=BB4_350 Depth=3
	s_or_b64 exec, exec, s[74:75]
.LBB4_850:                              ;   in Loop: Header=BB4_350 Depth=3
	s_or_b64 exec, exec, s[18:19]
	v_cmp_lt_u32_e32 vcc, s47, v2
	s_and_saveexec_b64 s[18:19], vcc
	s_cbranch_execz .LBB4_858
; %bb.851:                              ;   in Loop: Header=BB4_350 Depth=3
	v_lshrrev_b32_e32 v0, 24, v2
	v_cmp_ne_u32_e32 vcc, s48, v0
	v_bfrev_b32_e32 v19, 1
	s_and_saveexec_b64 s[74:75], vcc
	s_cbranch_execz .LBB4_857
; %bb.852:                              ;   in Loop: Header=BB4_350 Depth=3
	v_and_b32_e32 v19, 0x7c000000, v2
	v_bfe_u32 v20, v2, 24, 2
	v_cmp_ne_u32_e32 vcc, s52, v19
                                        ; implicit-def: $vgpr19
	s_and_saveexec_b64 s[76:77], vcc
	s_xor_b64 s[76:77], exec, s[76:77]
	s_cbranch_execz .LBB4_854
; %bb.853:                              ;   in Loop: Header=BB4_350 Depth=3
	v_ffbh_u32_e32 v21, v20
	v_min_u32_e32 v21, 32, v21
	v_subrev_u32_e32 v36, 29, v21
	v_bfe_u32 v19, v2, 26, 5
	v_lshlrev_b64 v[36:37], v36, v[0:1]
	v_sub_u32_e32 v0, 30, v21
	v_cmp_eq_u32_e32 vcc, 0, v19
	v_and_b32_e32 v21, 3, v36
	v_cndmask_b32_e32 v0, v19, v0, vcc
	v_and_b32_e32 v2, 0x80000000, v2
	v_cndmask_b32_e32 v19, v20, v21, vcc
	v_lshl_add_u32 v0, v0, 23, v2
	v_lshl_or_b32 v0, v19, 21, v0
	v_add_u32_e32 v19, 0x38000000, v0
                                        ; implicit-def: $vgpr20
.LBB4_854:                              ;   in Loop: Header=BB4_350 Depth=3
	s_andn2_saveexec_b64 s[76:77], s[76:77]
; %bb.855:                              ;   in Loop: Header=BB4_350 Depth=3
	v_cmp_lt_i32_e32 vcc, -1, v2
	v_cndmask_b32_e32 v0, v8, v54, vcc
	v_cmp_eq_u32_e32 vcc, 0, v20
	v_cndmask_b32_e32 v19, v55, v0, vcc
; %bb.856:                              ;   in Loop: Header=BB4_350 Depth=3
	s_or_b64 exec, exec, s[76:77]
.LBB4_857:                              ;   in Loop: Header=BB4_350 Depth=3
	s_or_b64 exec, exec, s[74:75]
.LBB4_858:                              ;   in Loop: Header=BB4_350 Depth=3
	s_or_b64 exec, exec, s[18:19]
	v_add_f32_e32 v20, v28, v19
	v_and_b32_e32 v36, 0x7f800000, v20
	v_mov_b32_e32 v37, v3
	v_cmp_ne_u64_e32 vcc, s[56:57], v[36:37]
	v_and_b32_e32 v2, 0x7fffff, v20
                                        ; implicit-def: $vgpr19
	s_and_saveexec_b64 s[18:19], vcc
	s_xor_b64 s[74:75], exec, s[18:19]
	s_cbranch_execz .LBB4_872
; %bb.859:                              ;   in Loop: Header=BB4_350 Depth=3
	v_and_b32_e32 v36, 0x7fffffff, v20
	v_mov_b32_e32 v37, v3
	v_cmp_gt_u64_e32 vcc, s[58:59], v[36:37]
	v_and_b32_sdwa v0, v20, s48 dst_sel:DWORD dst_unused:UNUSED_PAD src0_sel:BYTE_3 src1_sel:DWORD
                                        ; implicit-def: $vgpr19
	s_and_saveexec_b64 s[18:19], vcc
	s_xor_b64 s[76:77], exec, s[18:19]
	s_cbranch_execz .LBB4_869
; %bb.860:                              ;   in Loop: Header=BB4_350 Depth=3
	v_mov_b32_e32 v19, 0
	v_cmp_ne_u32_e32 vcc, 0, v20
	s_and_saveexec_b64 s[78:79], vcc
	s_cbranch_execz .LBB4_868
; %bb.861:                              ;   in Loop: Header=BB4_350 Depth=3
	v_bfe_u32 v28, v20, 23, 8
	v_cmp_gt_u32_e64 s[18:19], s49, v28
	v_sub_u32_e32 v19, 0x71, v28
	v_cmp_eq_u32_e32 vcc, 0, v28
	v_cndmask_b32_e64 v19, 0, v19, s[18:19]
	v_cndmask_b32_e32 v36, v19, v12, vcc
	v_or_b32_e32 v20, 0x800000, v2
	v_add_u32_e32 v19, 21, v36
	v_cndmask_b32_e32 v2, v20, v2, vcc
	v_lshlrev_b64 v[19:20], v19, -1
	v_add_u32_e32 v21, 20, v36
	v_lshlrev_b64 v[37:38], v21, 1
	v_bfi_b32 v20, v20, 0, 0
	v_bfi_b32 v19, v19, 0, v2
	v_cmp_eq_u64_e64 s[18:19], v[19:20], v[37:38]
	v_lshrrev_b64 v[19:20], v36, v[2:3]
	v_mov_b32_e32 v21, v20
	v_mov_b32_e32 v20, v19
	s_and_saveexec_b64 s[88:89], s[18:19]
; %bb.862:                              ;   in Loop: Header=BB4_350 Depth=3
	v_bfe_u32 v2, v19, 21, 1
	v_add_co_u32_e64 v2, s[18:19], v19, v2
	v_add_co_u32_e64 v20, s[18:19], -1, v2
; %bb.863:                              ;   in Loop: Header=BB4_350 Depth=3
	s_or_b64 exec, exec, s[88:89]
	v_add_u32_e32 v2, 0xffffff81, v28
	v_cndmask_b32_e32 v2, v2, v48, vcc
	v_lshrrev_b32_e32 v21, 23, v19
	v_add3_u32 v36, v36, v2, v21
	v_add_u32_e32 v28, 14, v36
	v_and_b32_e32 v2, 0x1fffff, v20
	v_add_u32_e32 v2, v2, v19
	v_cmp_ne_u32_e32 vcc, 0, v28
                                        ; implicit-def: $vgpr19_vgpr20
                                        ; implicit-def: $vgpr21
	s_and_saveexec_b64 s[18:19], vcc
	s_xor_b64 s[18:19], exec, s[18:19]
; %bb.864:                              ;   in Loop: Header=BB4_350 Depth=3
	v_cmp_lt_u64_e32 vcc, s[60:61], v[2:3]
	v_add_u32_e32 v19, 15, v36
	v_cndmask_b32_e32 v21, v28, v19, vcc
	v_cndmask_b32_e64 v19, 0, 1, vcc
	v_lshrrev_b64 v[19:20], v19, v[2:3]
; %bb.865:                              ;   in Loop: Header=BB4_350 Depth=3
	s_andn2_saveexec_b64 s[18:19], s[18:19]
; %bb.866:                              ;   in Loop: Header=BB4_350 Depth=3
	v_mov_b32_e32 v20, v3
	v_bfe_u32 v21, v2, 23, 1
	v_mov_b32_e32 v19, v2
; %bb.867:                              ;   in Loop: Header=BB4_350 Depth=3
	s_or_b64 exec, exec, s[18:19]
	v_lshrrev_b64 v[19:20], 21, v[19:20]
	v_cmp_gt_i32_e32 vcc, 32, v21
	v_cndmask_b32_e32 v20, 0, v20, vcc
	v_cndmask_b32_e32 v19, 3, v19, vcc
	v_min_i32_e32 v2, 31, v21
	v_cmp_eq_u64_e64 s[18:19], 0, v[19:20]
	v_lshlrev_b32_e32 v2, 2, v2
	v_cmp_eq_u32_e32 vcc, 0, v21
	v_and_b32_e32 v2, 0xfc, v2
	v_and_or_b32 v2, v19, 3, v2
	s_and_b64 s[18:19], vcc, s[18:19]
	v_cndmask_b32_e64 v2, v2, 0, s[18:19]
	v_or_b32_e32 v19, v2, v0
.LBB4_868:                              ;   in Loop: Header=BB4_350 Depth=3
	s_or_b64 exec, exec, s[78:79]
                                        ; implicit-def: $vgpr0
.LBB4_869:                              ;   in Loop: Header=BB4_350 Depth=3
	s_andn2_saveexec_b64 s[18:19], s[76:77]
; %bb.870:                              ;   in Loop: Header=BB4_350 Depth=3
	v_or_b32_e32 v19, 0x7b, v0
; %bb.871:                              ;   in Loop: Header=BB4_350 Depth=3
	s_or_b64 exec, exec, s[18:19]
                                        ; implicit-def: $vgpr20
.LBB4_872:                              ;   in Loop: Header=BB4_350 Depth=3
	s_andn2_saveexec_b64 s[18:19], s[74:75]
	s_cbranch_execz .LBB4_349
; %bb.873:                              ;   in Loop: Header=BB4_350 Depth=3
	v_cmp_ne_u64_e32 vcc, 0, v[2:3]
                                        ; implicit-def: $vgpr19
	s_and_saveexec_b64 s[74:75], vcc
	s_xor_b64 s[74:75], exec, s[74:75]
; %bb.874:                              ;   in Loop: Header=BB4_350 Depth=3
	v_or_b32_sdwa v19, v20, s50 dst_sel:DWORD dst_unused:UNUSED_PAD src0_sel:BYTE_3 src1_sel:DWORD
                                        ; implicit-def: $vgpr20
; %bb.875:                              ;   in Loop: Header=BB4_350 Depth=3
	s_andn2_saveexec_b64 s[74:75], s[74:75]
	s_cbranch_execz .LBB4_348
; %bb.876:                              ;   in Loop: Header=BB4_350 Depth=3
	v_cmp_lt_i32_e32 vcc, -1, v20
	v_cndmask_b32_e32 v19, v49, v11, vcc
	s_branch .LBB4_348
.LBB4_877:                              ;   in Loop: Header=BB4_305 Depth=2
	s_or_b64 exec, exec, s[72:73]
	buffer_load_dword v60, off, s[0:3], s32 offset:120 ; 4-byte Folded Reload
	buffer_load_dword v61, off, s[0:3], s32 offset:124 ; 4-byte Folded Reload
	;; [unrolled: 1-line block ×4, first 2 shown]
	s_or_b64 exec, exec, s[62:63]
	s_and_saveexec_b64 s[18:19], s[10:11]
	s_cbranch_execz .LBB4_342
.LBB4_878:                              ;   in Loop: Header=BB4_305 Depth=2
	s_and_saveexec_b64 s[62:63], s[40:41]
	s_xor_b64 s[62:63], exec, s[62:63]
	s_cbranch_execz .LBB4_893
; %bb.879:                              ;   in Loop: Header=BB4_305 Depth=2
	s_and_saveexec_b64 s[72:73], s[12:13]
	s_cbranch_execz .LBB4_892
; %bb.880:                              ;   in Loop: Header=BB4_305 Depth=2
	s_mov_b64 s[76:77], exec
	s_waitcnt vmcnt(0) lgkmcnt(0)
	v_mbcnt_lo_u32_b32 v0, s76, 0
	v_mbcnt_hi_u32_b32 v0, s77, v0
	v_cmp_eq_u32_e32 vcc, 0, v0
	buffer_wbinvl1_vol
	s_and_saveexec_b64 s[74:75], vcc
	s_cbranch_execz .LBB4_882
; %bb.881:                              ;   in Loop: Header=BB4_305 Depth=2
	s_bcnt1_i32_b64 s26, s[76:77]
	v_mov_b32_e32 v2, s26
	ds_add_u64 v0, v[2:3]
	s_trap 2
.LBB4_882:                              ;   in Loop: Header=BB4_305 Depth=2
	s_or_b64 exec, exec, s[74:75]
	s_trap 2
	ds_read_b64 v[19:20], v0
	s_waitcnt lgkmcnt(0)
	buffer_load_dword v0, off, s[0:3], s32 offset:132 ; 4-byte Folded Reload
	s_waitcnt vmcnt(0)
	v_add_co_u32_e32 v40, vcc, v40, v0
	v_addc_co_u32_e32 v41, vcc, 0, v41, vcc
	v_cmp_lt_u64_e32 vcc, v[19:20], v[40:41]
	s_and_saveexec_b64 s[74:75], vcc
	s_cbranch_execz .LBB4_891
; %bb.883:                              ;   in Loop: Header=BB4_305 Depth=2
	s_mov_b32 s26, 0
	s_mov_b64 s[76:77], 0
                                        ; implicit-def: $sgpr78_sgpr79
                                        ; implicit-def: $sgpr88_sgpr89
	s_branch .LBB4_885
.LBB4_884:                              ;   in Loop: Header=BB4_885 Depth=3
	s_or_b64 exec, exec, s[92:93]
	s_and_b64 s[90:91], exec, s[94:95]
	s_or_b64 s[76:77], s[90:91], s[76:77]
	s_andn2_b64 s[78:79], s[78:79], exec
	s_and_b64 s[90:91], s[88:89], exec
	s_or_b64 s[78:79], s[78:79], s[90:91]
	s_andn2_b64 exec, exec, s[76:77]
	s_cbranch_execz .LBB4_889
.LBB4_885:                              ;   Parent Loop BB4_32 Depth=1
                                        ;     Parent Loop BB4_305 Depth=2
                                        ; =>    This Inner Loop Header: Depth=3
	s_add_i32 s26, s26, 1
	s_cmpk_lg_i32 s26, 0x2710
	s_cselect_b64 s[90:91], -1, 0
	s_and_b64 vcc, exec, s[90:91]
	s_cbranch_vccz .LBB4_887
; %bb.886:                              ;   in Loop: Header=BB4_885 Depth=3
	s_mov_b64 s[94:95], -1
	s_or_b64 s[88:89], s[88:89], exec
	s_and_saveexec_b64 s[92:93], s[90:91]
	s_cbranch_execz .LBB4_884
	s_branch .LBB4_888
.LBB4_887:                              ;   in Loop: Header=BB4_885 Depth=3
	s_trap 2
	ds_read_b64 v[19:20], v0
	s_andn2_b64 s[90:91], s[90:91], exec
	s_mov_b32 s26, 0
	s_waitcnt lgkmcnt(0)
	flat_load_dword v0, v[19:20] glc
	s_waitcnt vmcnt(0) lgkmcnt(0)
	buffer_wbinvl1_vol
	v_cmp_eq_u32_e32 vcc, 0, v0
	s_and_b64 s[92:93], vcc, exec
	s_or_b64 s[90:91], s[90:91], s[92:93]
	s_mov_b64 s[94:95], -1
	s_or_b64 s[88:89], s[88:89], exec
	s_and_saveexec_b64 s[92:93], s[90:91]
	s_cbranch_execz .LBB4_884
.LBB4_888:                              ;   in Loop: Header=BB4_885 Depth=3
	s_sleep 1
	s_trap 2
	ds_read_b64 v[19:20], v0
	s_waitcnt lgkmcnt(0)
	s_andn2_b64 s[88:89], s[88:89], exec
	v_cmp_ge_u64_e32 vcc, v[19:20], v[40:41]
	s_orn2_b64 s[94:95], vcc, exec
	s_branch .LBB4_884
.LBB4_889:                              ;   in Loop: Header=BB4_305 Depth=2
	s_or_b64 exec, exec, s[76:77]
	s_and_saveexec_b64 s[76:77], s[78:79]
	s_xor_b64 s[76:77], exec, s[76:77]
	s_cbranch_execz .LBB4_891
; %bb.890:                              ;   in Loop: Header=BB4_305 Depth=2
	v_mov_b32_e32 v0, 1
	ds_write_b32 v0, v0
	s_trap 2
.LBB4_891:                              ;   in Loop: Header=BB4_305 Depth=2
	s_or_b64 exec, exec, s[74:75]
	;;#ASMSTART
	s_wakeup
	;;#ASMEND
.LBB4_892:                              ;   in Loop: Header=BB4_305 Depth=2
	s_or_b64 exec, exec, s[72:73]
.LBB4_893:                              ;   in Loop: Header=BB4_305 Depth=2
	s_andn2_saveexec_b64 s[62:63], s[62:63]
	s_cbranch_execz .LBB4_895
; %bb.894:                              ;   in Loop: Header=BB4_305 Depth=2
	s_waitcnt vmcnt(0) lgkmcnt(0)
	buffer_wbinvl1_vol
	s_barrier
.LBB4_895:                              ;   in Loop: Header=BB4_305 Depth=2
	s_or_b64 exec, exec, s[62:63]
	s_or_b64 exec, exec, s[18:19]
	s_and_saveexec_b64 s[18:19], s[14:15]
	s_cbranch_execnz .LBB4_343
	s_branch .LBB4_344
.LBB4_896:                              ;   in Loop: Header=BB4_32 Depth=1
	v_mov_b32_e32 v21, v46
	v_mov_b32_e32 v22, v47
	s_and_saveexec_b64 s[18:19], s[16:17]
	s_cbranch_execnz .LBB4_898
	s_branch .LBB4_1447
.LBB4_897:                              ;   in Loop: Header=BB4_32 Depth=1
	buffer_load_dword v23, off, s[0:3], s32 offset:196 ; 4-byte Folded Reload
	buffer_load_dword v24, off, s[0:3], s32 offset:200 ; 4-byte Folded Reload
	v_mov_b32_e32 v21, v46
	v_mov_b32_e32 v22, v47
	s_and_saveexec_b64 s[18:19], s[16:17]
	s_cbranch_execz .LBB4_1447
.LBB4_898:                              ;   in Loop: Header=BB4_32 Depth=1
	buffer_store_dword v43, off, s[0:3], s32 offset:68 ; 4-byte Folded Spill
	s_nop 0
	buffer_store_dword v44, off, s[0:3], s32 offset:72 ; 4-byte Folded Spill
	s_waitcnt lgkmcnt(0)
	flat_load_dword v0, v[60:61]
	buffer_load_dword v17, off, s[0:3], s32 offset:204 ; 4-byte Folded Reload
	buffer_load_dword v18, off, s[0:3], s32 offset:208 ; 4-byte Folded Reload
	;; [unrolled: 1-line block ×5, first 2 shown]
	v_add_u32_e32 v59, 1, v34
	s_mov_b64 s[62:63], 0
	s_waitcnt vmcnt(0) lgkmcnt(0)
	v_ashrrev_i32_e32 v2, 31, v0
	v_mov_b32_e32 v17, v19
	v_mov_b32_e32 v18, v20
	buffer_load_dword v19, off, s[0:3], s32 offset:88 ; 4-byte Folded Reload
	v_add_co_u32_e32 v17, vcc, v17, v23
	v_addc_co_u32_e32 v18, vcc, v18, v24, vcc
	v_mul_lo_u32 v10, v10, v0
	s_waitcnt vmcnt(0)
	v_mul_lo_u32 v2, v19, v2
	v_mad_u64_u32 v[17:18], s[16:17], v19, v0, v[17:18]
	v_add3_u32 v0, v10, v18, v2
	buffer_load_dword v2, off, s[0:3], s32 offset:152 ; 4-byte Folded Reload
	s_waitcnt vmcnt(0)
	v_add_co_u32_e32 v26, vcc, v17, v2
	v_addc_co_u32_e32 v42, vcc, 0, v0, vcc
	buffer_load_dword v0, off, s[0:3], s32 offset:228 ; 4-byte Folded Reload
	s_waitcnt vmcnt(0)
	v_add_co_u32_e32 v46, vcc, v0, v23
	buffer_load_dword v0, off, s[0:3], s32 offset:232 ; 4-byte Folded Reload
	buffer_load_dword v19, off, s[0:3], s32 offset:104 ; 4-byte Folded Reload
	;; [unrolled: 1-line block ×5, first 2 shown]
	s_waitcnt vmcnt(4)
	v_addc_co_u32_e32 v47, vcc, v0, v24, vcc
	v_and_b32_e32 v0, 7, v34
	v_mul_lo_u32 v17, v0, s36
	v_ashrrev_i32_e32 v18, 31, v17
	v_lshlrev_b64 v[17:18], 4, v[17:18]
	s_waitcnt vmcnt(3)
	v_add_co_u32_e32 v43, vcc, v19, v17
	s_waitcnt vmcnt(2)
	v_addc_co_u32_e32 v58, vcc, v20, v18, vcc
	s_branch .LBB4_900
.LBB4_899:                              ;   in Loop: Header=BB4_900 Depth=2
	v_add_co_u32_e32 v26, vcc, v26, v25
	v_addc_co_u32_e32 v42, vcc, 0, v42, vcc
	v_add_co_u32_e32 v46, vcc, v46, v25
	v_addc_co_u32_e32 v47, vcc, 0, v47, vcc
	v_sub_u32_e32 v4, v4, v25
	v_cmp_gt_i32_e32 vcc, 1, v4
	s_or_b64 s[62:63], vcc, s[62:63]
	v_add_u32_e32 v56, v56, v1
	s_andn2_b64 exec, exec, s[62:63]
	s_cbranch_execz .LBB4_1446
.LBB4_900:                              ;   Parent Loop BB4_32 Depth=1
                                        ; =>  This Loop Header: Depth=2
                                        ;       Child Loop BB4_908 Depth 3
	v_and_b32_e32 v17, -4, v26
	v_mov_b32_e32 v18, v42
	global_load_dword v0, v[17:18], off glc slc
	v_min_u32_e32 v2, 8, v4
	v_and_b32_e32 v10, 3, v26
	v_add_u32_e32 v2, v10, v2
	v_cmp_lt_u32_e32 vcc, 4, v2
	v_mov_b32_e32 v24, 0
	v_mov_b32_e32 v32, 0
	s_and_saveexec_b64 s[16:17], vcc
	s_cbranch_execz .LBB4_902
; %bb.901:                              ;   in Loop: Header=BB4_900 Depth=2
	global_load_dword v32, v[17:18], off offset:4 glc slc
.LBB4_902:                              ;   in Loop: Header=BB4_900 Depth=2
	s_or_b64 exec, exec, s[16:17]
	v_cmp_lt_u64_e32 vcc, 8, v[2:3]
	s_and_saveexec_b64 s[16:17], vcc
	s_cbranch_execz .LBB4_904
; %bb.903:                              ;   in Loop: Header=BB4_900 Depth=2
	global_load_dword v24, v[17:18], off offset:8 glc slc
.LBB4_904:                              ;   in Loop: Header=BB4_900 Depth=2
	s_or_b64 exec, exec, s[16:17]
	s_waitcnt vmcnt(0)
	v_mov_b32_e32 v57, v3
	v_lshlrev_b64 v[17:18], 4, v[56:57]
	v_add_co_u32_e32 v29, vcc, v43, v17
	v_addc_co_u32_e32 v30, vcc, v58, v18, vcc
	global_load_dwordx4 v[17:20], v[29:30], off glc slc
	v_cmp_eq_u32_e32 vcc, 0, v9
	v_mov_b32_e32 v9, 1
	s_and_saveexec_b64 s[72:73], vcc
	s_cbranch_execz .LBB4_916
; %bb.905:                              ;   in Loop: Header=BB4_900 Depth=2
	s_waitcnt vmcnt(0)
	v_cmp_ne_u32_e32 vcc, v59, v18
	v_cmp_ne_u32_e64 s[16:17], v59, v20
	s_or_b64 s[16:17], vcc, s[16:17]
	v_mov_b32_e32 v9, 0
	s_and_saveexec_b64 s[74:75], s[16:17]
	s_cbranch_execz .LBB4_915
; %bb.906:                              ;   in Loop: Header=BB4_900 Depth=2
	s_mov_b32 s26, 1
	s_mov_b64 s[78:79], 0
                                        ; implicit-def: $sgpr76_sgpr77
                                        ; implicit-def: $sgpr88_sgpr89
	s_branch .LBB4_908
.LBB4_907:                              ;   in Loop: Header=BB4_908 Depth=3
	s_or_b64 exec, exec, s[92:93]
	s_and_b64 s[16:17], exec, s[16:17]
	s_or_b64 s[78:79], s[16:17], s[78:79]
	s_andn2_b64 s[16:17], s[76:77], exec
	s_and_b64 s[76:77], s[88:89], exec
	s_or_b64 s[76:77], s[16:17], s[76:77]
	s_andn2_b64 exec, exec, s[78:79]
	s_cbranch_execz .LBB4_912
.LBB4_908:                              ;   Parent Loop BB4_32 Depth=1
                                        ;     Parent Loop BB4_900 Depth=2
                                        ; =>    This Inner Loop Header: Depth=3
	global_load_dwordx4 v[17:20], v[29:30], off glc slc
	s_add_i32 s26, s26, 1
	s_mov_b64 s[16:17], -1
	s_cmpk_lg_i32 s26, 0x2710
	s_mov_b64 s[90:91], -1
                                        ; implicit-def: $vgpr2
	s_cbranch_scc0 .LBB4_910
; %bb.909:                              ;   in Loop: Header=BB4_908 Depth=3
	s_or_b64 s[88:89], s[88:89], exec
	s_and_saveexec_b64 s[92:93], s[90:91]
	s_cbranch_execz .LBB4_907
	s_branch .LBB4_911
.LBB4_910:                              ;   in Loop: Header=BB4_908 Depth=3
	s_trap 2
	ds_read_b64 v[9:10], v0
	s_mov_b32 s26, 0
	s_waitcnt vmcnt(0) lgkmcnt(0)
	flat_load_dword v2, v[9:10] glc
	s_waitcnt vmcnt(0) lgkmcnt(0)
	buffer_wbinvl1_vol
	v_cmp_eq_u32_e32 vcc, 0, v2
	s_orn2_b64 s[90:91], vcc, exec
	s_or_b64 s[88:89], s[88:89], exec
	s_and_saveexec_b64 s[92:93], s[90:91]
	s_cbranch_execz .LBB4_907
.LBB4_911:                              ;   in Loop: Header=BB4_908 Depth=3
	s_waitcnt vmcnt(0)
	v_cmp_eq_u32_e32 vcc, v59, v18
	v_cmp_eq_u32_e64 s[16:17], v59, v20
	s_and_b64 s[16:17], vcc, s[16:17]
	s_andn2_b64 s[88:89], s[88:89], exec
	s_orn2_b64 s[16:17], s[16:17], exec
	s_branch .LBB4_907
.LBB4_912:                              ;   in Loop: Header=BB4_900 Depth=2
	s_or_b64 exec, exec, s[78:79]
	v_mov_b32_e32 v9, 0
	s_and_saveexec_b64 s[16:17], s[76:77]
	s_xor_b64 s[16:17], exec, s[16:17]
	s_cbranch_execz .LBB4_914
; %bb.913:                              ;   in Loop: Header=BB4_900 Depth=2
	v_mov_b32_e32 v9, 1
	ds_write_b32 v0, v2
	s_trap 2
.LBB4_914:                              ;   in Loop: Header=BB4_900 Depth=2
	s_or_b64 exec, exec, s[16:17]
.LBB4_915:                              ;   in Loop: Header=BB4_900 Depth=2
	s_or_b64 exec, exec, s[74:75]
.LBB4_916:                              ;   in Loop: Header=BB4_900 Depth=2
	s_or_b64 exec, exec, s[72:73]
	v_lshlrev_b32_e32 v30, 3, v26
	s_waitcnt vmcnt(0)
	v_alignbit_b32 v2, v32, v0, v30
	v_cmp_ne_u16_sdwa s[72:73], v2, v3 src0_sel:BYTE_0 src1_sel:DWORD
	v_mov_b32_e32 v0, 0
	s_and_saveexec_b64 s[16:17], s[72:73]
	s_cbranch_execz .LBB4_924
; %bb.917:                              ;   in Loop: Header=BB4_900 Depth=2
	v_cmp_ne_u16_sdwa s[74:75], sext(v2), s38 src0_sel:BYTE_0 src1_sel:DWORD
	v_bfrev_b32_e32 v0, 1
	s_and_saveexec_b64 s[72:73], s[74:75]
	s_cbranch_execz .LBB4_923
; %bb.918:                              ;   in Loop: Header=BB4_900 Depth=2
	v_and_b32_e32 v0, 0x7c, v2
	v_and_b32_e32 v10, 3, v2
	v_cmp_ne_u32_e32 vcc, s39, v0
                                        ; implicit-def: $vgpr0
	s_and_saveexec_b64 s[74:75], vcc
	s_xor_b64 s[74:75], exec, s[74:75]
	s_cbranch_execz .LBB4_920
; %bb.919:                              ;   in Loop: Header=BB4_900 Depth=2
	v_ffbh_u32_e32 v23, v10
	v_min_u32_e32 v23, 32, v23
	v_bfe_u32 v0, v2, 2, 5
	v_subrev_u32_e32 v27, 29, v23
	v_lshlrev_b64 v[27:28], v27, v[2:3]
	v_sub_u32_e32 v23, 30, v23
	v_cmp_eq_u32_e32 vcc, 0, v0
	v_cndmask_b32_e32 v0, v0, v23, vcc
	v_lshlrev_b32_e32 v23, 24, v2
	v_and_b32_e32 v27, 3, v27
	v_and_b32_e32 v23, 0x80000000, v23
	v_cndmask_b32_e32 v10, v10, v27, vcc
	v_lshl_add_u32 v0, v0, 23, v23
	v_lshl_or_b32 v0, v10, 21, v0
	v_add_u32_e32 v0, 0x38000000, v0
                                        ; implicit-def: $vgpr10
.LBB4_920:                              ;   in Loop: Header=BB4_900 Depth=2
	s_andn2_saveexec_b64 s[74:75], s[74:75]
; %bb.921:                              ;   in Loop: Header=BB4_900 Depth=2
	v_cmp_gt_i16_sdwa vcc, sext(v2), v7 src0_sel:BYTE_0 src1_sel:DWORD
	v_cndmask_b32_e32 v0, v8, v54, vcc
	v_cmp_eq_u32_e32 vcc, 0, v10
	v_cndmask_b32_e32 v0, v55, v0, vcc
; %bb.922:                              ;   in Loop: Header=BB4_900 Depth=2
	s_or_b64 exec, exec, s[74:75]
.LBB4_923:                              ;   in Loop: Header=BB4_900 Depth=2
	s_or_b64 exec, exec, s[72:73]
.LBB4_924:                              ;   in Loop: Header=BB4_900 Depth=2
	s_or_b64 exec, exec, s[16:17]
	v_mul_f32_e32 v23, v62, v0
	v_and_b32_e32 v28, 0x7f800000, v23
	v_mov_b32_e32 v29, v3
	v_cmp_ne_u64_e32 vcc, s[56:57], v[28:29]
	v_and_b32_e32 v27, 0x7fffff, v23
	v_mov_b32_e32 v28, v3
                                        ; implicit-def: $vgpr10
	s_and_saveexec_b64 s[16:17], vcc
	s_xor_b64 s[72:73], exec, s[16:17]
	s_cbranch_execz .LBB4_938
; %bb.925:                              ;   in Loop: Header=BB4_900 Depth=2
	v_and_b32_e32 v36, 0x7fffffff, v23
	v_mov_b32_e32 v37, v3
	v_cmp_gt_u64_e32 vcc, s[58:59], v[36:37]
	v_and_b32_sdwa v0, v23, s48 dst_sel:DWORD dst_unused:UNUSED_PAD src0_sel:BYTE_3 src1_sel:DWORD
                                        ; implicit-def: $vgpr10
	s_and_saveexec_b64 s[16:17], vcc
	s_xor_b64 s[74:75], exec, s[16:17]
	s_cbranch_execz .LBB4_935
; %bb.926:                              ;   in Loop: Header=BB4_900 Depth=2
	v_mov_b32_e32 v10, 0
	v_cmp_ne_u32_e32 vcc, 0, v23
	s_and_saveexec_b64 s[76:77], vcc
	s_cbranch_execz .LBB4_934
; %bb.927:                              ;   in Loop: Header=BB4_900 Depth=2
	v_bfe_u32 v10, v23, 23, 8
	v_cmp_gt_u32_e64 s[16:17], s49, v10
	v_sub_u32_e32 v23, 0x71, v10
	v_cmp_eq_u32_e32 vcc, 0, v10
	v_cndmask_b32_e64 v23, 0, v23, s[16:17]
	v_or_b32_e32 v29, 0x800000, v27
	v_cndmask_b32_e32 v23, v23, v12, vcc
	v_cndmask_b32_e32 v27, v29, v27, vcc
	v_add_u32_e32 v29, 21, v23
	v_lshlrev_b64 v[36:37], v29, -1
	v_add_u32_e32 v29, 20, v23
	v_bfi_b32 v36, v36, 0, v27
	v_lshlrev_b64 v[38:39], v29, 1
	v_lshrrev_b64 v[27:28], v23, v[27:28]
	v_bfi_b32 v37, v37, 0, 0
	v_cmp_eq_u64_e64 s[16:17], v[36:37], v[38:39]
	v_mov_b32_e32 v29, v28
	v_mov_b32_e32 v28, v27
	s_and_saveexec_b64 s[78:79], s[16:17]
; %bb.928:                              ;   in Loop: Header=BB4_900 Depth=2
	v_bfe_u32 v28, v27, 21, 1
	v_add_co_u32_e64 v28, s[16:17], v27, v28
	v_add_co_u32_e64 v28, s[16:17], -1, v28
; %bb.929:                              ;   in Loop: Header=BB4_900 Depth=2
	s_or_b64 exec, exec, s[78:79]
	v_add_u32_e32 v10, 0xffffff81, v10
	v_cndmask_b32_e32 v10, v10, v48, vcc
	v_lshrrev_b32_e32 v29, 23, v27
	v_add3_u32 v29, v23, v10, v29
	v_add_u32_e32 v23, 14, v29
	v_and_b32_e32 v10, 0x1fffff, v28
	v_add_u32_e32 v27, v10, v27
	v_mov_b32_e32 v28, v3
	v_cmp_ne_u32_e32 vcc, 0, v23
                                        ; implicit-def: $vgpr10
	s_and_saveexec_b64 s[16:17], vcc
	s_xor_b64 s[16:17], exec, s[16:17]
; %bb.930:                              ;   in Loop: Header=BB4_900 Depth=2
	v_cmp_lt_u64_e32 vcc, s[60:61], v[27:28]
	v_add_u32_e32 v10, 15, v29
	v_cndmask_b32_e32 v10, v23, v10, vcc
	v_cndmask_b32_e64 v23, 0, 1, vcc
	v_lshrrev_b64 v[27:28], v23, v[27:28]
; %bb.931:                              ;   in Loop: Header=BB4_900 Depth=2
	s_andn2_saveexec_b64 s[16:17], s[16:17]
; %bb.932:                              ;   in Loop: Header=BB4_900 Depth=2
	v_bfe_u32 v10, v27, 23, 1
; %bb.933:                              ;   in Loop: Header=BB4_900 Depth=2
	s_or_b64 exec, exec, s[16:17]
	v_lshrrev_b64 v[27:28], 21, v[27:28]
	v_cmp_gt_i32_e32 vcc, 32, v10
	v_cndmask_b32_e32 v28, 0, v28, vcc
	v_cndmask_b32_e32 v27, 3, v27, vcc
	v_cmp_eq_u32_e32 vcc, 0, v10
	v_min_i32_e32 v10, 31, v10
	v_cmp_eq_u64_e64 s[16:17], 0, v[27:28]
	v_lshlrev_b32_e32 v10, 2, v10
	v_and_b32_e32 v10, 0xfc, v10
	v_and_or_b32 v10, v27, 3, v10
	s_and_b64 s[16:17], vcc, s[16:17]
	v_cndmask_b32_e64 v10, v10, 0, s[16:17]
	v_or_b32_e32 v10, v10, v0
.LBB4_934:                              ;   in Loop: Header=BB4_900 Depth=2
	s_or_b64 exec, exec, s[76:77]
                                        ; implicit-def: $vgpr0
.LBB4_935:                              ;   in Loop: Header=BB4_900 Depth=2
	s_andn2_saveexec_b64 s[16:17], s[74:75]
; %bb.936:                              ;   in Loop: Header=BB4_900 Depth=2
	v_or_b32_e32 v10, 0x7b, v0
; %bb.937:                              ;   in Loop: Header=BB4_900 Depth=2
	s_or_b64 exec, exec, s[16:17]
                                        ; implicit-def: $vgpr23
                                        ; implicit-def: $vgpr27_vgpr28
.LBB4_938:                              ;   in Loop: Header=BB4_900 Depth=2
	s_andn2_saveexec_b64 s[16:17], s[72:73]
	s_cbranch_execz .LBB4_944
; %bb.939:                              ;   in Loop: Header=BB4_900 Depth=2
	v_cmp_ne_u64_e32 vcc, 0, v[27:28]
                                        ; implicit-def: $vgpr10
	s_and_saveexec_b64 s[72:73], vcc
	s_xor_b64 s[72:73], exec, s[72:73]
; %bb.940:                              ;   in Loop: Header=BB4_900 Depth=2
	v_or_b32_sdwa v10, v23, s50 dst_sel:DWORD dst_unused:UNUSED_PAD src0_sel:BYTE_3 src1_sel:DWORD
                                        ; implicit-def: $vgpr23
; %bb.941:                              ;   in Loop: Header=BB4_900 Depth=2
	s_andn2_saveexec_b64 s[72:73], s[72:73]
; %bb.942:                              ;   in Loop: Header=BB4_900 Depth=2
	v_cmp_lt_i32_e32 vcc, -1, v23
	v_cndmask_b32_e32 v10, v49, v11, vcc
; %bb.943:                              ;   in Loop: Header=BB4_900 Depth=2
	s_or_b64 exec, exec, s[72:73]
.LBB4_944:                              ;   in Loop: Header=BB4_900 Depth=2
	s_or_b64 exec, exec, s[16:17]
	v_lshrrev_b16_e32 v27, 8, v2
	v_cmp_ne_u16_e32 vcc, 0, v27
	v_mov_b32_e32 v0, 0
	s_and_saveexec_b64 s[16:17], vcc
	s_cbranch_execz .LBB4_952
; %bb.945:                              ;   in Loop: Header=BB4_900 Depth=2
	v_cmp_ne_u16_e32 vcc, s48, v27
	v_bfrev_b32_e32 v0, 1
	s_and_saveexec_b64 s[72:73], vcc
	s_cbranch_execz .LBB4_951
; %bb.946:                              ;   in Loop: Header=BB4_900 Depth=2
	v_and_b32_e32 v0, 0x7c, v27
	v_and_b32_e32 v23, 3, v27
	v_cmp_ne_u32_e32 vcc, s39, v0
                                        ; implicit-def: $vgpr0
	s_and_saveexec_b64 s[74:75], vcc
	s_xor_b64 s[74:75], exec, s[74:75]
	s_cbranch_execz .LBB4_948
; %bb.947:                              ;   in Loop: Header=BB4_900 Depth=2
	v_ffbh_u32_e32 v29, v23
	v_min_u32_e32 v29, 32, v29
	v_mov_b32_e32 v28, v3
	v_subrev_u32_e32 v31, 29, v29
	v_bfe_u32 v0, v27, 2, 5
	v_lshlrev_b64 v[27:28], v31, v[27:28]
	v_cmp_eq_u32_e32 vcc, 0, v0
	v_and_b32_e32 v27, 3, v27
	v_sub_u32_e32 v28, 30, v29
	v_cndmask_b32_e32 v23, v23, v27, vcc
	v_lshlrev_b32_e32 v27, 16, v2
	v_cndmask_b32_e32 v0, v0, v28, vcc
	v_and_b32_e32 v27, 0x80000000, v27
	v_lshl_add_u32 v0, v0, 23, v27
	v_lshl_or_b32 v0, v23, 21, v0
	v_add_u32_e32 v0, 0x38000000, v0
                                        ; implicit-def: $vgpr23
.LBB4_948:                              ;   in Loop: Header=BB4_900 Depth=2
	s_andn2_saveexec_b64 s[74:75], s[74:75]
; %bb.949:                              ;   in Loop: Header=BB4_900 Depth=2
	v_cmp_lt_i16_e32 vcc, -1, v2
	v_cndmask_b32_e32 v0, v8, v54, vcc
	v_cmp_eq_u32_e32 vcc, 0, v23
	v_cndmask_b32_e32 v0, v55, v0, vcc
; %bb.950:                              ;   in Loop: Header=BB4_900 Depth=2
	s_or_b64 exec, exec, s[74:75]
.LBB4_951:                              ;   in Loop: Header=BB4_900 Depth=2
	s_or_b64 exec, exec, s[72:73]
.LBB4_952:                              ;   in Loop: Header=BB4_900 Depth=2
	s_or_b64 exec, exec, s[16:17]
	v_mul_f32_e32 v29, v62, v0
	v_and_b32_e32 v36, 0x7f800000, v29
	v_mov_b32_e32 v37, v3
	v_cmp_ne_u64_e32 vcc, s[56:57], v[36:37]
	v_and_b32_e32 v27, 0x7fffff, v29
	v_mov_b32_e32 v28, v3
                                        ; implicit-def: $vgpr23
	s_and_saveexec_b64 s[16:17], vcc
	s_xor_b64 s[72:73], exec, s[16:17]
	s_cbranch_execz .LBB4_966
; %bb.953:                              ;   in Loop: Header=BB4_900 Depth=2
	v_and_b32_e32 v36, 0x7fffffff, v29
	v_mov_b32_e32 v37, v3
	v_cmp_gt_u64_e32 vcc, s[58:59], v[36:37]
	v_and_b32_sdwa v0, v29, s48 dst_sel:DWORD dst_unused:UNUSED_PAD src0_sel:BYTE_3 src1_sel:DWORD
                                        ; implicit-def: $vgpr23
	s_and_saveexec_b64 s[16:17], vcc
	s_xor_b64 s[74:75], exec, s[16:17]
	s_cbranch_execz .LBB4_963
; %bb.954:                              ;   in Loop: Header=BB4_900 Depth=2
	v_mov_b32_e32 v23, 0
	v_cmp_ne_u32_e32 vcc, 0, v29
	s_and_saveexec_b64 s[76:77], vcc
	s_cbranch_execz .LBB4_962
; %bb.955:                              ;   in Loop: Header=BB4_900 Depth=2
	v_bfe_u32 v23, v29, 23, 8
	v_cmp_gt_u32_e64 s[16:17], s49, v23
	v_sub_u32_e32 v29, 0x71, v23
	v_cmp_eq_u32_e32 vcc, 0, v23
	v_cndmask_b32_e64 v29, 0, v29, s[16:17]
	v_cndmask_b32_e32 v31, v29, v12, vcc
	v_add_u32_e32 v29, 21, v31
	v_or_b32_e32 v33, 0x800000, v27
	v_lshlrev_b64 v[36:37], v29, -1
	v_cndmask_b32_e32 v27, v33, v27, vcc
	v_add_u32_e32 v29, 20, v31
	v_bfi_b32 v36, v36, 0, v27
	v_lshlrev_b64 v[38:39], v29, 1
	v_lshrrev_b64 v[27:28], v31, v[27:28]
	v_bfi_b32 v37, v37, 0, 0
	v_cmp_eq_u64_e64 s[16:17], v[36:37], v[38:39]
	v_mov_b32_e32 v29, v28
	v_mov_b32_e32 v28, v27
	s_and_saveexec_b64 s[78:79], s[16:17]
; %bb.956:                              ;   in Loop: Header=BB4_900 Depth=2
	v_bfe_u32 v28, v27, 21, 1
	v_add_co_u32_e64 v28, s[16:17], v27, v28
	v_add_co_u32_e64 v28, s[16:17], -1, v28
; %bb.957:                              ;   in Loop: Header=BB4_900 Depth=2
	s_or_b64 exec, exec, s[78:79]
	v_add_u32_e32 v23, 0xffffff81, v23
	v_cndmask_b32_e32 v23, v23, v48, vcc
	v_lshrrev_b32_e32 v29, 23, v27
	v_add3_u32 v31, v31, v23, v29
	v_add_u32_e32 v29, 14, v31
	v_and_b32_e32 v23, 0x1fffff, v28
	v_add_u32_e32 v27, v23, v27
	v_mov_b32_e32 v28, v3
	v_cmp_ne_u32_e32 vcc, 0, v29
                                        ; implicit-def: $vgpr23
	s_and_saveexec_b64 s[16:17], vcc
	s_xor_b64 s[16:17], exec, s[16:17]
; %bb.958:                              ;   in Loop: Header=BB4_900 Depth=2
	v_cmp_lt_u64_e32 vcc, s[60:61], v[27:28]
	v_add_u32_e32 v23, 15, v31
	v_cndmask_b32_e32 v23, v29, v23, vcc
	v_cndmask_b32_e64 v29, 0, 1, vcc
	v_lshrrev_b64 v[27:28], v29, v[27:28]
; %bb.959:                              ;   in Loop: Header=BB4_900 Depth=2
	s_andn2_saveexec_b64 s[16:17], s[16:17]
; %bb.960:                              ;   in Loop: Header=BB4_900 Depth=2
	v_bfe_u32 v23, v27, 23, 1
; %bb.961:                              ;   in Loop: Header=BB4_900 Depth=2
	s_or_b64 exec, exec, s[16:17]
	v_lshrrev_b64 v[27:28], 21, v[27:28]
	v_cmp_gt_i32_e32 vcc, 32, v23
	v_cndmask_b32_e32 v28, 0, v28, vcc
	v_cndmask_b32_e32 v27, 3, v27, vcc
	v_cmp_eq_u32_e32 vcc, 0, v23
	v_min_i32_e32 v23, 31, v23
	v_cmp_eq_u64_e64 s[16:17], 0, v[27:28]
	v_lshlrev_b32_e32 v23, 2, v23
	v_and_b32_e32 v23, 0xfc, v23
	v_and_or_b32 v23, v27, 3, v23
	s_and_b64 s[16:17], vcc, s[16:17]
	v_cndmask_b32_e64 v23, v23, 0, s[16:17]
	v_or_b32_e32 v23, v23, v0
.LBB4_962:                              ;   in Loop: Header=BB4_900 Depth=2
	s_or_b64 exec, exec, s[76:77]
                                        ; implicit-def: $vgpr0
.LBB4_963:                              ;   in Loop: Header=BB4_900 Depth=2
	s_andn2_saveexec_b64 s[16:17], s[74:75]
; %bb.964:                              ;   in Loop: Header=BB4_900 Depth=2
	v_or_b32_e32 v23, 0x7b, v0
; %bb.965:                              ;   in Loop: Header=BB4_900 Depth=2
	s_or_b64 exec, exec, s[16:17]
                                        ; implicit-def: $vgpr29
                                        ; implicit-def: $vgpr27_vgpr28
.LBB4_966:                              ;   in Loop: Header=BB4_900 Depth=2
	s_andn2_saveexec_b64 s[16:17], s[72:73]
	s_cbranch_execz .LBB4_972
; %bb.967:                              ;   in Loop: Header=BB4_900 Depth=2
	v_cmp_ne_u64_e32 vcc, 0, v[27:28]
                                        ; implicit-def: $vgpr23
	s_and_saveexec_b64 s[72:73], vcc
	s_xor_b64 s[72:73], exec, s[72:73]
; %bb.968:                              ;   in Loop: Header=BB4_900 Depth=2
	v_or_b32_sdwa v23, v29, s50 dst_sel:DWORD dst_unused:UNUSED_PAD src0_sel:BYTE_3 src1_sel:DWORD
                                        ; implicit-def: $vgpr29
; %bb.969:                              ;   in Loop: Header=BB4_900 Depth=2
	s_andn2_saveexec_b64 s[72:73], s[72:73]
; %bb.970:                              ;   in Loop: Header=BB4_900 Depth=2
	v_cmp_lt_i32_e32 vcc, -1, v29
	v_cndmask_b32_e32 v23, v49, v11, vcc
; %bb.971:                              ;   in Loop: Header=BB4_900 Depth=2
	s_or_b64 exec, exec, s[72:73]
.LBB4_972:                              ;   in Loop: Header=BB4_900 Depth=2
	s_or_b64 exec, exec, s[16:17]
	v_and_b32_sdwa v28, v2, s37 dst_sel:DWORD dst_unused:UNUSED_PAD src0_sel:WORD_1 src1_sel:DWORD
	v_lshrrev_b32_e32 v27, 16, v2
	v_cmp_ne_u16_e32 vcc, 0, v28
	v_mov_b32_e32 v0, 0
	s_and_saveexec_b64 s[16:17], vcc
	s_cbranch_execz .LBB4_980
; %bb.973:                              ;   in Loop: Header=BB4_900 Depth=2
	v_cmp_ne_u16_e32 vcc, s48, v28
	v_bfrev_b32_e32 v0, 1
	s_and_saveexec_b64 s[72:73], vcc
	s_cbranch_execz .LBB4_979
; %bb.974:                              ;   in Loop: Header=BB4_900 Depth=2
	v_and_b32_e32 v0, 0x7c0000, v2
	v_bfe_u32 v28, v2, 16, 2
	v_cmp_ne_u32_e32 vcc, s51, v0
                                        ; implicit-def: $vgpr0
	s_and_saveexec_b64 s[74:75], vcc
	s_xor_b64 s[74:75], exec, s[74:75]
	s_cbranch_execz .LBB4_976
; %bb.975:                              ;   in Loop: Header=BB4_900 Depth=2
	v_ffbh_u32_e32 v29, v28
	v_min_u32_e32 v29, 32, v29
	v_lshrrev_b32_e32 v0, 16, v2
	v_subrev_u32_e32 v31, 29, v29
	v_lshlrev_b64 v[36:37], v31, v[0:1]
	v_bfe_u32 v27, v2, 18, 5
	v_sub_u32_e32 v0, 30, v29
	v_and_b32_e32 v29, 3, v36
	v_cmp_eq_u32_e32 vcc, 0, v27
	v_cndmask_b32_e32 v0, v27, v0, vcc
	v_cndmask_b32_e32 v27, v28, v29, vcc
	v_lshlrev_b32_e32 v28, 8, v2
	v_and_b32_e32 v28, 0x80000000, v28
	v_lshl_add_u32 v0, v0, 23, v28
	v_lshl_or_b32 v0, v27, 21, v0
	v_add_u32_e32 v0, 0x38000000, v0
                                        ; implicit-def: $vgpr28
                                        ; implicit-def: $vgpr27
.LBB4_976:                              ;   in Loop: Header=BB4_900 Depth=2
	s_andn2_saveexec_b64 s[74:75], s[74:75]
; %bb.977:                              ;   in Loop: Header=BB4_900 Depth=2
	v_cmp_gt_i16_sdwa vcc, sext(v27), v7 src0_sel:BYTE_0 src1_sel:DWORD
	v_cndmask_b32_e32 v0, v8, v54, vcc
	v_cmp_eq_u32_e32 vcc, 0, v28
	v_cndmask_b32_e32 v0, v55, v0, vcc
; %bb.978:                              ;   in Loop: Header=BB4_900 Depth=2
	s_or_b64 exec, exec, s[74:75]
.LBB4_979:                              ;   in Loop: Header=BB4_900 Depth=2
	s_or_b64 exec, exec, s[72:73]
.LBB4_980:                              ;   in Loop: Header=BB4_900 Depth=2
	s_or_b64 exec, exec, s[16:17]
	v_mul_f32_e32 v29, v62, v0
	v_and_b32_e32 v36, 0x7f800000, v29
	v_mov_b32_e32 v37, v3
	v_cmp_ne_u64_e32 vcc, s[56:57], v[36:37]
	v_and_b32_e32 v27, 0x7fffff, v29
	v_mov_b32_e32 v28, v3
                                        ; implicit-def: $vgpr31
	s_and_saveexec_b64 s[16:17], vcc
	s_xor_b64 s[72:73], exec, s[16:17]
	s_cbranch_execz .LBB4_994
; %bb.981:                              ;   in Loop: Header=BB4_900 Depth=2
	v_and_b32_e32 v36, 0x7fffffff, v29
	v_mov_b32_e32 v37, v3
	v_cmp_gt_u64_e32 vcc, s[58:59], v[36:37]
	v_and_b32_sdwa v0, v29, s48 dst_sel:DWORD dst_unused:UNUSED_PAD src0_sel:BYTE_3 src1_sel:DWORD
                                        ; implicit-def: $vgpr31
	s_and_saveexec_b64 s[16:17], vcc
	s_xor_b64 s[74:75], exec, s[16:17]
	s_cbranch_execz .LBB4_991
; %bb.982:                              ;   in Loop: Header=BB4_900 Depth=2
	v_mov_b32_e32 v31, 0
	v_cmp_ne_u32_e32 vcc, 0, v29
	s_and_saveexec_b64 s[76:77], vcc
	s_cbranch_execz .LBB4_990
; %bb.983:                              ;   in Loop: Header=BB4_900 Depth=2
	v_bfe_u32 v31, v29, 23, 8
	v_cmp_gt_u32_e64 s[16:17], s49, v31
	v_sub_u32_e32 v29, 0x71, v31
	v_cmp_eq_u32_e32 vcc, 0, v31
	v_cndmask_b32_e64 v29, 0, v29, s[16:17]
	v_cndmask_b32_e32 v33, v29, v12, vcc
	v_or_b32_e32 v36, 0x800000, v27
	v_add_u32_e32 v29, 21, v33
	v_cndmask_b32_e32 v27, v36, v27, vcc
	v_lshlrev_b64 v[36:37], v29, -1
	v_add_u32_e32 v29, 20, v33
	v_bfi_b32 v36, v36, 0, v27
	v_lshlrev_b64 v[38:39], v29, 1
	v_lshrrev_b64 v[27:28], v33, v[27:28]
	v_bfi_b32 v37, v37, 0, 0
	v_cmp_eq_u64_e64 s[16:17], v[36:37], v[38:39]
	v_mov_b32_e32 v29, v28
	v_mov_b32_e32 v28, v27
	s_and_saveexec_b64 s[78:79], s[16:17]
; %bb.984:                              ;   in Loop: Header=BB4_900 Depth=2
	v_bfe_u32 v28, v27, 21, 1
	v_add_co_u32_e64 v28, s[16:17], v27, v28
	v_add_co_u32_e64 v28, s[16:17], -1, v28
; %bb.985:                              ;   in Loop: Header=BB4_900 Depth=2
	s_or_b64 exec, exec, s[78:79]
	v_add_u32_e32 v29, 0xffffff81, v31
	v_cndmask_b32_e32 v29, v29, v48, vcc
	v_lshrrev_b32_e32 v31, 23, v27
	v_add3_u32 v33, v33, v29, v31
	v_add_u32_e32 v31, 14, v33
	v_and_b32_e32 v28, 0x1fffff, v28
	v_add_u32_e32 v27, v28, v27
	v_mov_b32_e32 v28, v3
	v_cmp_ne_u32_e32 vcc, 0, v31
                                        ; implicit-def: $vgpr29
	s_and_saveexec_b64 s[16:17], vcc
	s_xor_b64 s[16:17], exec, s[16:17]
; %bb.986:                              ;   in Loop: Header=BB4_900 Depth=2
	v_cmp_lt_u64_e32 vcc, s[60:61], v[27:28]
	v_add_u32_e32 v29, 15, v33
	v_cndmask_b32_e32 v29, v31, v29, vcc
	v_cndmask_b32_e64 v31, 0, 1, vcc
	v_lshrrev_b64 v[27:28], v31, v[27:28]
; %bb.987:                              ;   in Loop: Header=BB4_900 Depth=2
	s_andn2_saveexec_b64 s[16:17], s[16:17]
; %bb.988:                              ;   in Loop: Header=BB4_900 Depth=2
	v_bfe_u32 v29, v27, 23, 1
; %bb.989:                              ;   in Loop: Header=BB4_900 Depth=2
	s_or_b64 exec, exec, s[16:17]
	v_lshrrev_b64 v[27:28], 21, v[27:28]
	v_cmp_gt_i32_e32 vcc, 32, v29
	v_cndmask_b32_e32 v28, 0, v28, vcc
	v_cndmask_b32_e32 v27, 3, v27, vcc
	v_cmp_eq_u64_e64 s[16:17], 0, v[27:28]
	v_min_i32_e32 v28, 31, v29
	v_lshlrev_b32_e32 v28, 2, v28
	v_cmp_eq_u32_e32 vcc, 0, v29
	v_and_b32_e32 v28, 0xfc, v28
	v_and_or_b32 v27, v27, 3, v28
	s_and_b64 s[16:17], vcc, s[16:17]
	v_cndmask_b32_e64 v27, v27, 0, s[16:17]
	v_or_b32_e32 v31, v27, v0
.LBB4_990:                              ;   in Loop: Header=BB4_900 Depth=2
	s_or_b64 exec, exec, s[76:77]
                                        ; implicit-def: $vgpr0
.LBB4_991:                              ;   in Loop: Header=BB4_900 Depth=2
	s_andn2_saveexec_b64 s[16:17], s[74:75]
; %bb.992:                              ;   in Loop: Header=BB4_900 Depth=2
	v_or_b32_e32 v31, 0x7b, v0
; %bb.993:                              ;   in Loop: Header=BB4_900 Depth=2
	s_or_b64 exec, exec, s[16:17]
                                        ; implicit-def: $vgpr29
                                        ; implicit-def: $vgpr27_vgpr28
.LBB4_994:                              ;   in Loop: Header=BB4_900 Depth=2
	s_andn2_saveexec_b64 s[16:17], s[72:73]
	s_cbranch_execz .LBB4_1000
; %bb.995:                              ;   in Loop: Header=BB4_900 Depth=2
	v_cmp_ne_u64_e32 vcc, 0, v[27:28]
                                        ; implicit-def: $vgpr31
	s_and_saveexec_b64 s[72:73], vcc
	s_xor_b64 s[72:73], exec, s[72:73]
; %bb.996:                              ;   in Loop: Header=BB4_900 Depth=2
	v_or_b32_sdwa v31, v29, s50 dst_sel:DWORD dst_unused:UNUSED_PAD src0_sel:BYTE_3 src1_sel:DWORD
                                        ; implicit-def: $vgpr29
; %bb.997:                              ;   in Loop: Header=BB4_900 Depth=2
	s_andn2_saveexec_b64 s[72:73], s[72:73]
; %bb.998:                              ;   in Loop: Header=BB4_900 Depth=2
	v_cmp_lt_i32_e32 vcc, -1, v29
	v_cndmask_b32_e32 v31, v49, v11, vcc
; %bb.999:                              ;   in Loop: Header=BB4_900 Depth=2
	s_or_b64 exec, exec, s[72:73]
.LBB4_1000:                             ;   in Loop: Header=BB4_900 Depth=2
	s_or_b64 exec, exec, s[16:17]
	v_cmp_lt_u32_e32 vcc, s47, v2
	v_mov_b32_e32 v27, 0
	s_and_saveexec_b64 s[16:17], vcc
	s_cbranch_execz .LBB4_1008
; %bb.1001:                             ;   in Loop: Header=BB4_900 Depth=2
	v_lshrrev_b32_e32 v0, 24, v2
	v_cmp_ne_u32_e32 vcc, s48, v0
	v_bfrev_b32_e32 v27, 1
	s_and_saveexec_b64 s[72:73], vcc
	s_cbranch_execz .LBB4_1007
; %bb.1002:                             ;   in Loop: Header=BB4_900 Depth=2
	v_and_b32_e32 v27, 0x7c000000, v2
	v_bfe_u32 v28, v2, 24, 2
	v_cmp_ne_u32_e32 vcc, s52, v27
                                        ; implicit-def: $vgpr27
	s_and_saveexec_b64 s[74:75], vcc
	s_xor_b64 s[74:75], exec, s[74:75]
	s_cbranch_execz .LBB4_1004
; %bb.1003:                             ;   in Loop: Header=BB4_900 Depth=2
	v_ffbh_u32_e32 v29, v28
	v_min_u32_e32 v29, 32, v29
	v_subrev_u32_e32 v33, 29, v29
	v_bfe_u32 v27, v2, 26, 5
	v_lshlrev_b64 v[36:37], v33, v[0:1]
	v_sub_u32_e32 v0, 30, v29
	v_cmp_eq_u32_e32 vcc, 0, v27
	v_and_b32_e32 v29, 3, v36
	v_cndmask_b32_e32 v0, v27, v0, vcc
	v_and_b32_e32 v2, 0x80000000, v2
	v_cndmask_b32_e32 v27, v28, v29, vcc
	v_lshl_add_u32 v0, v0, 23, v2
	v_lshl_or_b32 v0, v27, 21, v0
	v_add_u32_e32 v27, 0x38000000, v0
                                        ; implicit-def: $vgpr28
.LBB4_1004:                             ;   in Loop: Header=BB4_900 Depth=2
	s_andn2_saveexec_b64 s[74:75], s[74:75]
; %bb.1005:                             ;   in Loop: Header=BB4_900 Depth=2
	v_cmp_lt_i32_e32 vcc, -1, v2
	v_cndmask_b32_e32 v0, v8, v54, vcc
	v_cmp_eq_u32_e32 vcc, 0, v28
	v_cndmask_b32_e32 v27, v55, v0, vcc
; %bb.1006:                             ;   in Loop: Header=BB4_900 Depth=2
	s_or_b64 exec, exec, s[74:75]
.LBB4_1007:                             ;   in Loop: Header=BB4_900 Depth=2
	s_or_b64 exec, exec, s[72:73]
.LBB4_1008:                             ;   in Loop: Header=BB4_900 Depth=2
	s_or_b64 exec, exec, s[16:17]
	v_mul_f32_e32 v27, v62, v27
	v_and_b32_e32 v28, 0x7f800000, v27
	v_mov_b32_e32 v29, v3
	v_cmp_ne_u64_e32 vcc, s[56:57], v[28:29]
	v_and_b32_e32 v2, 0x7fffff, v27
                                        ; implicit-def: $vgpr36
	s_and_saveexec_b64 s[16:17], vcc
	s_xor_b64 s[72:73], exec, s[16:17]
	s_cbranch_execz .LBB4_1022
; %bb.1009:                             ;   in Loop: Header=BB4_900 Depth=2
	v_and_b32_e32 v28, 0x7fffffff, v27
	v_mov_b32_e32 v29, v3
	v_cmp_gt_u64_e32 vcc, s[58:59], v[28:29]
	v_and_b32_sdwa v0, v27, s48 dst_sel:DWORD dst_unused:UNUSED_PAD src0_sel:BYTE_3 src1_sel:DWORD
                                        ; implicit-def: $vgpr36
	s_and_saveexec_b64 s[16:17], vcc
	s_xor_b64 s[74:75], exec, s[16:17]
	s_cbranch_execz .LBB4_1019
; %bb.1010:                             ;   in Loop: Header=BB4_900 Depth=2
	v_mov_b32_e32 v36, 0
	v_cmp_ne_u32_e32 vcc, 0, v27
	s_and_saveexec_b64 s[76:77], vcc
	s_cbranch_execz .LBB4_1018
; %bb.1011:                             ;   in Loop: Header=BB4_900 Depth=2
	v_bfe_u32 v33, v27, 23, 8
	v_cmp_gt_u32_e64 s[16:17], s49, v33
	v_sub_u32_e32 v27, 0x71, v33
	v_cmp_eq_u32_e32 vcc, 0, v33
	v_cndmask_b32_e64 v27, 0, v27, s[16:17]
	v_cndmask_b32_e32 v36, v27, v12, vcc
	v_or_b32_e32 v28, 0x800000, v2
	v_add_u32_e32 v27, 21, v36
	v_cndmask_b32_e32 v2, v28, v2, vcc
	v_lshlrev_b64 v[27:28], v27, -1
	v_add_u32_e32 v29, 20, v36
	v_lshlrev_b64 v[37:38], v29, 1
	v_bfi_b32 v28, v28, 0, 0
	v_bfi_b32 v27, v27, 0, v2
	v_cmp_eq_u64_e64 s[16:17], v[27:28], v[37:38]
	v_lshrrev_b64 v[27:28], v36, v[2:3]
	v_mov_b32_e32 v29, v28
	v_mov_b32_e32 v28, v27
	s_and_saveexec_b64 s[78:79], s[16:17]
; %bb.1012:                             ;   in Loop: Header=BB4_900 Depth=2
	v_bfe_u32 v2, v27, 21, 1
	v_add_co_u32_e64 v2, s[16:17], v27, v2
	v_add_co_u32_e64 v28, s[16:17], -1, v2
; %bb.1013:                             ;   in Loop: Header=BB4_900 Depth=2
	s_or_b64 exec, exec, s[78:79]
	v_add_u32_e32 v2, 0xffffff81, v33
	v_cndmask_b32_e32 v2, v2, v48, vcc
	v_lshrrev_b32_e32 v29, 23, v27
	v_add3_u32 v36, v36, v2, v29
	v_add_u32_e32 v33, 14, v36
	v_and_b32_e32 v2, 0x1fffff, v28
	v_add_u32_e32 v2, v2, v27
	v_cmp_ne_u32_e32 vcc, 0, v33
                                        ; implicit-def: $vgpr27_vgpr28
                                        ; implicit-def: $vgpr29
	s_and_saveexec_b64 s[16:17], vcc
	s_xor_b64 s[16:17], exec, s[16:17]
; %bb.1014:                             ;   in Loop: Header=BB4_900 Depth=2
	v_cmp_lt_u64_e32 vcc, s[60:61], v[2:3]
	v_add_u32_e32 v27, 15, v36
	v_cndmask_b32_e32 v29, v33, v27, vcc
	v_cndmask_b32_e64 v27, 0, 1, vcc
	v_lshrrev_b64 v[27:28], v27, v[2:3]
; %bb.1015:                             ;   in Loop: Header=BB4_900 Depth=2
	s_andn2_saveexec_b64 s[16:17], s[16:17]
; %bb.1016:                             ;   in Loop: Header=BB4_900 Depth=2
	v_mov_b32_e32 v28, v3
	v_bfe_u32 v29, v2, 23, 1
	v_mov_b32_e32 v27, v2
; %bb.1017:                             ;   in Loop: Header=BB4_900 Depth=2
	s_or_b64 exec, exec, s[16:17]
	v_lshrrev_b64 v[27:28], 21, v[27:28]
	v_cmp_gt_i32_e32 vcc, 32, v29
	v_cndmask_b32_e32 v28, 0, v28, vcc
	v_cndmask_b32_e32 v27, 3, v27, vcc
	v_min_i32_e32 v2, 31, v29
	v_cmp_eq_u64_e64 s[16:17], 0, v[27:28]
	v_lshlrev_b32_e32 v2, 2, v2
	v_cmp_eq_u32_e32 vcc, 0, v29
	v_and_b32_e32 v2, 0xfc, v2
	v_and_or_b32 v2, v27, 3, v2
	s_and_b64 s[16:17], vcc, s[16:17]
	v_cndmask_b32_e64 v2, v2, 0, s[16:17]
	v_or_b32_e32 v36, v2, v0
.LBB4_1018:                             ;   in Loop: Header=BB4_900 Depth=2
	s_or_b64 exec, exec, s[76:77]
                                        ; implicit-def: $vgpr0
.LBB4_1019:                             ;   in Loop: Header=BB4_900 Depth=2
	s_andn2_saveexec_b64 s[16:17], s[74:75]
; %bb.1020:                             ;   in Loop: Header=BB4_900 Depth=2
	v_or_b32_e32 v36, 0x7b, v0
; %bb.1021:                             ;   in Loop: Header=BB4_900 Depth=2
	s_or_b64 exec, exec, s[16:17]
                                        ; implicit-def: $vgpr27
.LBB4_1022:                             ;   in Loop: Header=BB4_900 Depth=2
	s_andn2_saveexec_b64 s[16:17], s[72:73]
	s_cbranch_execz .LBB4_1028
; %bb.1023:                             ;   in Loop: Header=BB4_900 Depth=2
	v_cmp_ne_u64_e32 vcc, 0, v[2:3]
                                        ; implicit-def: $vgpr36
	s_and_saveexec_b64 s[72:73], vcc
	s_xor_b64 s[72:73], exec, s[72:73]
; %bb.1024:                             ;   in Loop: Header=BB4_900 Depth=2
	v_or_b32_sdwa v36, v27, s50 dst_sel:DWORD dst_unused:UNUSED_PAD src0_sel:BYTE_3 src1_sel:DWORD
                                        ; implicit-def: $vgpr27
; %bb.1025:                             ;   in Loop: Header=BB4_900 Depth=2
	s_andn2_saveexec_b64 s[72:73], s[72:73]
; %bb.1026:                             ;   in Loop: Header=BB4_900 Depth=2
	v_cmp_lt_i32_e32 vcc, -1, v27
	v_cndmask_b32_e32 v36, v49, v11, vcc
; %bb.1027:                             ;   in Loop: Header=BB4_900 Depth=2
	s_or_b64 exec, exec, s[72:73]
.LBB4_1028:                             ;   in Loop: Header=BB4_900 Depth=2
	s_or_b64 exec, exec, s[16:17]
	v_alignbit_b32 v2, v24, v32, v30
	v_cmp_ne_u16_sdwa s[72:73], v2, v3 src0_sel:BYTE_0 src1_sel:DWORD
	v_mov_b32_e32 v0, 0
	s_and_saveexec_b64 s[16:17], s[72:73]
	s_cbranch_execz .LBB4_1036
; %bb.1029:                             ;   in Loop: Header=BB4_900 Depth=2
	v_cmp_ne_u16_sdwa s[74:75], sext(v2), s38 src0_sel:BYTE_0 src1_sel:DWORD
	v_bfrev_b32_e32 v0, 1
	s_and_saveexec_b64 s[72:73], s[74:75]
	s_cbranch_execz .LBB4_1035
; %bb.1030:                             ;   in Loop: Header=BB4_900 Depth=2
	v_and_b32_e32 v0, 0x7c, v2
	v_and_b32_e32 v24, 3, v2
	v_cmp_ne_u32_e32 vcc, s39, v0
                                        ; implicit-def: $vgpr0
	s_and_saveexec_b64 s[74:75], vcc
	s_xor_b64 s[74:75], exec, s[74:75]
	s_cbranch_execz .LBB4_1032
; %bb.1031:                             ;   in Loop: Header=BB4_900 Depth=2
	v_ffbh_u32_e32 v27, v24
	v_min_u32_e32 v29, 32, v27
	v_subrev_u32_e32 v27, 29, v29
	v_lshlrev_b64 v[27:28], v27, v[2:3]
	v_bfe_u32 v0, v2, 2, 5
	v_and_b32_e32 v27, 3, v27
	v_cmp_eq_u32_e32 vcc, 0, v0
	v_sub_u32_e32 v28, 30, v29
	v_cndmask_b32_e32 v24, v24, v27, vcc
	v_lshlrev_b32_e32 v27, 24, v2
	v_cndmask_b32_e32 v0, v0, v28, vcc
	v_and_b32_e32 v27, 0x80000000, v27
	v_lshl_add_u32 v0, v0, 23, v27
	v_lshl_or_b32 v0, v24, 21, v0
	v_add_u32_e32 v0, 0x38000000, v0
                                        ; implicit-def: $vgpr24
.LBB4_1032:                             ;   in Loop: Header=BB4_900 Depth=2
	s_andn2_saveexec_b64 s[74:75], s[74:75]
; %bb.1033:                             ;   in Loop: Header=BB4_900 Depth=2
	v_cmp_gt_i16_sdwa vcc, sext(v2), v7 src0_sel:BYTE_0 src1_sel:DWORD
	v_cndmask_b32_e32 v0, v8, v54, vcc
	v_cmp_eq_u32_e32 vcc, 0, v24
	v_cndmask_b32_e32 v0, v55, v0, vcc
; %bb.1034:                             ;   in Loop: Header=BB4_900 Depth=2
	s_or_b64 exec, exec, s[74:75]
.LBB4_1035:                             ;   in Loop: Header=BB4_900 Depth=2
	s_or_b64 exec, exec, s[72:73]
.LBB4_1036:                             ;   in Loop: Header=BB4_900 Depth=2
	s_or_b64 exec, exec, s[16:17]
	v_mul_f32_e32 v24, v62, v0
	v_and_b32_e32 v28, 0x7f800000, v24
	v_mov_b32_e32 v29, v3
	v_cmp_ne_u64_e32 vcc, s[56:57], v[28:29]
	v_and_b32_e32 v27, 0x7fffff, v24
	v_mov_b32_e32 v28, v3
                                        ; implicit-def: $vgpr30
	s_and_saveexec_b64 s[16:17], vcc
	s_xor_b64 s[72:73], exec, s[16:17]
	s_cbranch_execz .LBB4_1050
; %bb.1037:                             ;   in Loop: Header=BB4_900 Depth=2
	v_and_b32_e32 v29, 0x7fffffff, v24
	v_mov_b32_e32 v30, v3
	v_cmp_gt_u64_e32 vcc, s[58:59], v[29:30]
	v_and_b32_sdwa v0, v24, s48 dst_sel:DWORD dst_unused:UNUSED_PAD src0_sel:BYTE_3 src1_sel:DWORD
                                        ; implicit-def: $vgpr30
	s_and_saveexec_b64 s[16:17], vcc
	s_xor_b64 s[74:75], exec, s[16:17]
	s_cbranch_execz .LBB4_1047
; %bb.1038:                             ;   in Loop: Header=BB4_900 Depth=2
	v_mov_b32_e32 v30, 0
	v_cmp_ne_u32_e32 vcc, 0, v24
	s_and_saveexec_b64 s[76:77], vcc
	s_cbranch_execz .LBB4_1046
; %bb.1039:                             ;   in Loop: Header=BB4_900 Depth=2
	v_bfe_u32 v24, v24, 23, 8
	v_cmp_gt_u32_e64 s[16:17], s49, v24
	v_sub_u32_e32 v29, 0x71, v24
	v_cmp_eq_u32_e32 vcc, 0, v24
	v_cndmask_b32_e64 v29, 0, v29, s[16:17]
	v_cndmask_b32_e32 v30, v29, v12, vcc
	v_or_b32_e32 v32, 0x800000, v27
	v_add_u32_e32 v29, 21, v30
	v_cndmask_b32_e32 v27, v32, v27, vcc
	v_lshlrev_b64 v[32:33], v29, -1
	v_add_u32_e32 v29, 20, v30
	v_bfi_b32 v32, v32, 0, v27
	v_lshlrev_b64 v[37:38], v29, 1
	v_lshrrev_b64 v[27:28], v30, v[27:28]
	v_bfi_b32 v33, v33, 0, 0
	v_cmp_eq_u64_e64 s[16:17], v[32:33], v[37:38]
	v_mov_b32_e32 v29, v28
	v_mov_b32_e32 v28, v27
	s_and_saveexec_b64 s[78:79], s[16:17]
; %bb.1040:                             ;   in Loop: Header=BB4_900 Depth=2
	v_bfe_u32 v28, v27, 21, 1
	v_add_co_u32_e64 v28, s[16:17], v27, v28
	v_add_co_u32_e64 v28, s[16:17], -1, v28
; %bb.1041:                             ;   in Loop: Header=BB4_900 Depth=2
	s_or_b64 exec, exec, s[78:79]
	v_add_u32_e32 v24, 0xffffff81, v24
	v_cndmask_b32_e32 v24, v24, v48, vcc
	v_lshrrev_b32_e32 v29, 23, v27
	v_add3_u32 v30, v30, v24, v29
	v_add_u32_e32 v29, 14, v30
	v_and_b32_e32 v24, 0x1fffff, v28
	v_add_u32_e32 v27, v24, v27
	v_mov_b32_e32 v28, v3
	v_cmp_ne_u32_e32 vcc, 0, v29
                                        ; implicit-def: $vgpr24
	s_and_saveexec_b64 s[16:17], vcc
	s_xor_b64 s[16:17], exec, s[16:17]
; %bb.1042:                             ;   in Loop: Header=BB4_900 Depth=2
	v_cmp_lt_u64_e32 vcc, s[60:61], v[27:28]
	v_add_u32_e32 v24, 15, v30
	v_cndmask_b32_e32 v24, v29, v24, vcc
	v_cndmask_b32_e64 v29, 0, 1, vcc
	v_lshrrev_b64 v[27:28], v29, v[27:28]
; %bb.1043:                             ;   in Loop: Header=BB4_900 Depth=2
	s_andn2_saveexec_b64 s[16:17], s[16:17]
; %bb.1044:                             ;   in Loop: Header=BB4_900 Depth=2
	v_bfe_u32 v24, v27, 23, 1
; %bb.1045:                             ;   in Loop: Header=BB4_900 Depth=2
	s_or_b64 exec, exec, s[16:17]
	v_lshrrev_b64 v[27:28], 21, v[27:28]
	v_cmp_gt_i32_e32 vcc, 32, v24
	v_cndmask_b32_e32 v28, 0, v28, vcc
	v_cndmask_b32_e32 v27, 3, v27, vcc
	v_cmp_eq_u32_e32 vcc, 0, v24
	v_min_i32_e32 v24, 31, v24
	v_cmp_eq_u64_e64 s[16:17], 0, v[27:28]
	v_lshlrev_b32_e32 v24, 2, v24
	v_and_b32_e32 v24, 0xfc, v24
	v_and_or_b32 v24, v27, 3, v24
	s_and_b64 s[16:17], vcc, s[16:17]
	v_cndmask_b32_e64 v24, v24, 0, s[16:17]
	v_or_b32_e32 v30, v24, v0
.LBB4_1046:                             ;   in Loop: Header=BB4_900 Depth=2
	s_or_b64 exec, exec, s[76:77]
                                        ; implicit-def: $vgpr0
.LBB4_1047:                             ;   in Loop: Header=BB4_900 Depth=2
	s_andn2_saveexec_b64 s[16:17], s[74:75]
; %bb.1048:                             ;   in Loop: Header=BB4_900 Depth=2
	v_or_b32_e32 v30, 0x7b, v0
; %bb.1049:                             ;   in Loop: Header=BB4_900 Depth=2
	s_or_b64 exec, exec, s[16:17]
                                        ; implicit-def: $vgpr24
                                        ; implicit-def: $vgpr27_vgpr28
.LBB4_1050:                             ;   in Loop: Header=BB4_900 Depth=2
	s_andn2_saveexec_b64 s[16:17], s[72:73]
	s_cbranch_execz .LBB4_1056
; %bb.1051:                             ;   in Loop: Header=BB4_900 Depth=2
	v_cmp_ne_u64_e32 vcc, 0, v[27:28]
                                        ; implicit-def: $vgpr30
	s_and_saveexec_b64 s[72:73], vcc
	s_xor_b64 s[72:73], exec, s[72:73]
; %bb.1052:                             ;   in Loop: Header=BB4_900 Depth=2
	v_or_b32_sdwa v30, v24, s50 dst_sel:DWORD dst_unused:UNUSED_PAD src0_sel:BYTE_3 src1_sel:DWORD
                                        ; implicit-def: $vgpr24
; %bb.1053:                             ;   in Loop: Header=BB4_900 Depth=2
	s_andn2_saveexec_b64 s[72:73], s[72:73]
; %bb.1054:                             ;   in Loop: Header=BB4_900 Depth=2
	v_cmp_lt_i32_e32 vcc, -1, v24
	v_cndmask_b32_e32 v30, v49, v11, vcc
; %bb.1055:                             ;   in Loop: Header=BB4_900 Depth=2
	s_or_b64 exec, exec, s[72:73]
.LBB4_1056:                             ;   in Loop: Header=BB4_900 Depth=2
	s_or_b64 exec, exec, s[16:17]
	v_lshrrev_b16_e32 v27, 8, v2
	v_cmp_ne_u16_e32 vcc, 0, v27
	v_mov_b32_e32 v0, 0
	s_and_saveexec_b64 s[16:17], vcc
	s_cbranch_execz .LBB4_1064
; %bb.1057:                             ;   in Loop: Header=BB4_900 Depth=2
	v_cmp_ne_u16_e32 vcc, s48, v27
	v_bfrev_b32_e32 v0, 1
	s_and_saveexec_b64 s[72:73], vcc
	s_cbranch_execz .LBB4_1063
; %bb.1058:                             ;   in Loop: Header=BB4_900 Depth=2
	v_and_b32_e32 v0, 0x7c, v27
	v_and_b32_e32 v24, 3, v27
	v_cmp_ne_u32_e32 vcc, s39, v0
                                        ; implicit-def: $vgpr0
	s_and_saveexec_b64 s[74:75], vcc
	s_xor_b64 s[74:75], exec, s[74:75]
	s_cbranch_execz .LBB4_1060
; %bb.1059:                             ;   in Loop: Header=BB4_900 Depth=2
	v_ffbh_u32_e32 v29, v24
	v_min_u32_e32 v29, 32, v29
	v_mov_b32_e32 v28, v3
	v_subrev_u32_e32 v32, 29, v29
	v_bfe_u32 v0, v27, 2, 5
	v_lshlrev_b64 v[27:28], v32, v[27:28]
	v_cmp_eq_u32_e32 vcc, 0, v0
	v_and_b32_e32 v27, 3, v27
	v_sub_u32_e32 v28, 30, v29
	v_cndmask_b32_e32 v24, v24, v27, vcc
	v_lshlrev_b32_e32 v27, 16, v2
	v_cndmask_b32_e32 v0, v0, v28, vcc
	v_and_b32_e32 v27, 0x80000000, v27
	v_lshl_add_u32 v0, v0, 23, v27
	v_lshl_or_b32 v0, v24, 21, v0
	v_add_u32_e32 v0, 0x38000000, v0
                                        ; implicit-def: $vgpr24
.LBB4_1060:                             ;   in Loop: Header=BB4_900 Depth=2
	s_andn2_saveexec_b64 s[74:75], s[74:75]
; %bb.1061:                             ;   in Loop: Header=BB4_900 Depth=2
	v_cmp_lt_i16_e32 vcc, -1, v2
	v_cndmask_b32_e32 v0, v8, v54, vcc
	v_cmp_eq_u32_e32 vcc, 0, v24
	v_cndmask_b32_e32 v0, v55, v0, vcc
; %bb.1062:                             ;   in Loop: Header=BB4_900 Depth=2
	s_or_b64 exec, exec, s[74:75]
.LBB4_1063:                             ;   in Loop: Header=BB4_900 Depth=2
	s_or_b64 exec, exec, s[72:73]
.LBB4_1064:                             ;   in Loop: Header=BB4_900 Depth=2
	s_or_b64 exec, exec, s[16:17]
	v_mul_f32_e32 v24, v62, v0
	v_and_b32_e32 v28, 0x7f800000, v24
	v_mov_b32_e32 v29, v3
	v_cmp_ne_u64_e32 vcc, s[56:57], v[28:29]
	v_and_b32_e32 v27, 0x7fffff, v24
	v_mov_b32_e32 v28, v3
                                        ; implicit-def: $vgpr32
	s_and_saveexec_b64 s[16:17], vcc
	s_xor_b64 s[72:73], exec, s[16:17]
	s_cbranch_execz .LBB4_1078
; %bb.1065:                             ;   in Loop: Header=BB4_900 Depth=2
	v_and_b32_e32 v32, 0x7fffffff, v24
	v_mov_b32_e32 v33, v3
	v_cmp_gt_u64_e32 vcc, s[58:59], v[32:33]
	v_and_b32_sdwa v0, v24, s48 dst_sel:DWORD dst_unused:UNUSED_PAD src0_sel:BYTE_3 src1_sel:DWORD
                                        ; implicit-def: $vgpr32
	s_and_saveexec_b64 s[16:17], vcc
	s_xor_b64 s[74:75], exec, s[16:17]
	s_cbranch_execz .LBB4_1075
; %bb.1066:                             ;   in Loop: Header=BB4_900 Depth=2
	v_mov_b32_e32 v32, 0
	v_cmp_ne_u32_e32 vcc, 0, v24
	s_and_saveexec_b64 s[76:77], vcc
	s_cbranch_execz .LBB4_1074
; %bb.1067:                             ;   in Loop: Header=BB4_900 Depth=2
	v_bfe_u32 v24, v24, 23, 8
	v_cmp_gt_u32_e64 s[16:17], s49, v24
	v_sub_u32_e32 v29, 0x71, v24
	v_cmp_eq_u32_e32 vcc, 0, v24
	v_cndmask_b32_e64 v29, 0, v29, s[16:17]
	v_cndmask_b32_e32 v32, v29, v12, vcc
	v_add_u32_e32 v29, 21, v32
	v_or_b32_e32 v33, 0x800000, v27
	v_lshlrev_b64 v[37:38], v29, -1
	v_cndmask_b32_e32 v27, v33, v27, vcc
	v_add_u32_e32 v29, 20, v32
	v_bfi_b32 v37, v37, 0, v27
	v_lshlrev_b64 v[44:45], v29, 1
	v_lshrrev_b64 v[27:28], v32, v[27:28]
	v_bfi_b32 v38, v38, 0, 0
	v_cmp_eq_u64_e64 s[16:17], v[37:38], v[44:45]
	v_mov_b32_e32 v29, v28
	v_mov_b32_e32 v28, v27
	s_and_saveexec_b64 s[78:79], s[16:17]
; %bb.1068:                             ;   in Loop: Header=BB4_900 Depth=2
	v_bfe_u32 v28, v27, 21, 1
	v_add_co_u32_e64 v28, s[16:17], v27, v28
	v_add_co_u32_e64 v28, s[16:17], -1, v28
; %bb.1069:                             ;   in Loop: Header=BB4_900 Depth=2
	s_or_b64 exec, exec, s[78:79]
	v_add_u32_e32 v24, 0xffffff81, v24
	v_cndmask_b32_e32 v24, v24, v48, vcc
	v_lshrrev_b32_e32 v29, 23, v27
	v_add3_u32 v32, v32, v24, v29
	v_add_u32_e32 v29, 14, v32
	v_and_b32_e32 v24, 0x1fffff, v28
	v_add_u32_e32 v27, v24, v27
	v_mov_b32_e32 v28, v3
	v_cmp_ne_u32_e32 vcc, 0, v29
                                        ; implicit-def: $vgpr24
	s_and_saveexec_b64 s[16:17], vcc
	s_xor_b64 s[16:17], exec, s[16:17]
; %bb.1070:                             ;   in Loop: Header=BB4_900 Depth=2
	v_cmp_lt_u64_e32 vcc, s[60:61], v[27:28]
	v_add_u32_e32 v24, 15, v32
	v_cndmask_b32_e32 v24, v29, v24, vcc
	v_cndmask_b32_e64 v29, 0, 1, vcc
	v_lshrrev_b64 v[27:28], v29, v[27:28]
; %bb.1071:                             ;   in Loop: Header=BB4_900 Depth=2
	s_andn2_saveexec_b64 s[16:17], s[16:17]
; %bb.1072:                             ;   in Loop: Header=BB4_900 Depth=2
	v_bfe_u32 v24, v27, 23, 1
; %bb.1073:                             ;   in Loop: Header=BB4_900 Depth=2
	s_or_b64 exec, exec, s[16:17]
	v_lshrrev_b64 v[27:28], 21, v[27:28]
	v_cmp_gt_i32_e32 vcc, 32, v24
	v_cndmask_b32_e32 v28, 0, v28, vcc
	v_cndmask_b32_e32 v27, 3, v27, vcc
	v_cmp_eq_u32_e32 vcc, 0, v24
	v_min_i32_e32 v24, 31, v24
	v_cmp_eq_u64_e64 s[16:17], 0, v[27:28]
	v_lshlrev_b32_e32 v24, 2, v24
	v_and_b32_e32 v24, 0xfc, v24
	v_and_or_b32 v24, v27, 3, v24
	s_and_b64 s[16:17], vcc, s[16:17]
	v_cndmask_b32_e64 v24, v24, 0, s[16:17]
	v_or_b32_e32 v32, v24, v0
.LBB4_1074:                             ;   in Loop: Header=BB4_900 Depth=2
	s_or_b64 exec, exec, s[76:77]
                                        ; implicit-def: $vgpr0
.LBB4_1075:                             ;   in Loop: Header=BB4_900 Depth=2
	s_andn2_saveexec_b64 s[16:17], s[74:75]
; %bb.1076:                             ;   in Loop: Header=BB4_900 Depth=2
	v_or_b32_e32 v32, 0x7b, v0
; %bb.1077:                             ;   in Loop: Header=BB4_900 Depth=2
	s_or_b64 exec, exec, s[16:17]
                                        ; implicit-def: $vgpr24
                                        ; implicit-def: $vgpr27_vgpr28
.LBB4_1078:                             ;   in Loop: Header=BB4_900 Depth=2
	s_andn2_saveexec_b64 s[16:17], s[72:73]
	s_cbranch_execz .LBB4_1084
; %bb.1079:                             ;   in Loop: Header=BB4_900 Depth=2
	v_cmp_ne_u64_e32 vcc, 0, v[27:28]
                                        ; implicit-def: $vgpr32
	s_and_saveexec_b64 s[72:73], vcc
	s_xor_b64 s[72:73], exec, s[72:73]
; %bb.1080:                             ;   in Loop: Header=BB4_900 Depth=2
	v_or_b32_sdwa v32, v24, s50 dst_sel:DWORD dst_unused:UNUSED_PAD src0_sel:BYTE_3 src1_sel:DWORD
                                        ; implicit-def: $vgpr24
; %bb.1081:                             ;   in Loop: Header=BB4_900 Depth=2
	s_andn2_saveexec_b64 s[72:73], s[72:73]
; %bb.1082:                             ;   in Loop: Header=BB4_900 Depth=2
	v_cmp_lt_i32_e32 vcc, -1, v24
	v_cndmask_b32_e32 v32, v49, v11, vcc
; %bb.1083:                             ;   in Loop: Header=BB4_900 Depth=2
	s_or_b64 exec, exec, s[72:73]
.LBB4_1084:                             ;   in Loop: Header=BB4_900 Depth=2
	s_or_b64 exec, exec, s[16:17]
	v_and_b32_sdwa v27, v2, s37 dst_sel:DWORD dst_unused:UNUSED_PAD src0_sel:WORD_1 src1_sel:DWORD
	v_lshrrev_b32_e32 v0, 16, v2
	v_cmp_ne_u16_e32 vcc, 0, v27
	v_mov_b32_e32 v24, 0
	s_and_saveexec_b64 s[16:17], vcc
	s_cbranch_execz .LBB4_1092
; %bb.1085:                             ;   in Loop: Header=BB4_900 Depth=2
	v_cmp_ne_u16_e32 vcc, s48, v27
	v_bfrev_b32_e32 v24, 1
	s_and_saveexec_b64 s[72:73], vcc
	s_cbranch_execz .LBB4_1091
; %bb.1086:                             ;   in Loop: Header=BB4_900 Depth=2
	v_and_b32_e32 v24, 0x7c0000, v2
	v_bfe_u32 v27, v2, 16, 2
	v_cmp_ne_u32_e32 vcc, s51, v24
                                        ; implicit-def: $vgpr24
	s_and_saveexec_b64 s[74:75], vcc
	s_xor_b64 s[74:75], exec, s[74:75]
	s_cbranch_execz .LBB4_1088
; %bb.1087:                             ;   in Loop: Header=BB4_900 Depth=2
	v_ffbh_u32_e32 v28, v27
	v_min_u32_e32 v33, 32, v28
	v_subrev_u32_e32 v28, 29, v33
	v_lshlrev_b64 v[28:29], v28, v[0:1]
	v_bfe_u32 v24, v2, 18, 5
	v_sub_u32_e32 v0, 30, v33
	v_and_b32_e32 v28, 3, v28
	v_cmp_eq_u32_e32 vcc, 0, v24
	v_cndmask_b32_e32 v0, v24, v0, vcc
	v_cndmask_b32_e32 v24, v27, v28, vcc
	v_lshlrev_b32_e32 v27, 8, v2
	v_and_b32_e32 v27, 0x80000000, v27
	v_lshl_add_u32 v0, v0, 23, v27
	v_lshl_or_b32 v0, v24, 21, v0
	v_add_u32_e32 v24, 0x38000000, v0
                                        ; implicit-def: $vgpr27
                                        ; implicit-def: $vgpr0
.LBB4_1088:                             ;   in Loop: Header=BB4_900 Depth=2
	s_andn2_saveexec_b64 s[74:75], s[74:75]
; %bb.1089:                             ;   in Loop: Header=BB4_900 Depth=2
	v_cmp_gt_i16_sdwa vcc, sext(v0), v7 src0_sel:BYTE_0 src1_sel:DWORD
	v_cndmask_b32_e32 v0, v8, v54, vcc
	v_cmp_eq_u32_e32 vcc, 0, v27
	v_cndmask_b32_e32 v24, v55, v0, vcc
; %bb.1090:                             ;   in Loop: Header=BB4_900 Depth=2
	s_or_b64 exec, exec, s[74:75]
.LBB4_1091:                             ;   in Loop: Header=BB4_900 Depth=2
	s_or_b64 exec, exec, s[72:73]
.LBB4_1092:                             ;   in Loop: Header=BB4_900 Depth=2
	s_or_b64 exec, exec, s[16:17]
	v_mul_f32_e32 v24, v62, v24
	v_and_b32_e32 v28, 0x7f800000, v24
	v_mov_b32_e32 v29, v3
	v_cmp_ne_u64_e32 vcc, s[56:57], v[28:29]
	v_and_b32_e32 v27, 0x7fffff, v24
	v_mov_b32_e32 v28, v3
                                        ; implicit-def: $vgpr33
	s_and_saveexec_b64 s[16:17], vcc
	s_xor_b64 s[72:73], exec, s[16:17]
	s_cbranch_execz .LBB4_1106
; %bb.1093:                             ;   in Loop: Header=BB4_900 Depth=2
	v_and_b32_e32 v37, 0x7fffffff, v24
	v_mov_b32_e32 v38, v3
	v_cmp_gt_u64_e32 vcc, s[58:59], v[37:38]
	v_and_b32_sdwa v0, v24, s48 dst_sel:DWORD dst_unused:UNUSED_PAD src0_sel:BYTE_3 src1_sel:DWORD
                                        ; implicit-def: $vgpr33
	s_and_saveexec_b64 s[16:17], vcc
	s_xor_b64 s[74:75], exec, s[16:17]
	s_cbranch_execz .LBB4_1103
; %bb.1094:                             ;   in Loop: Header=BB4_900 Depth=2
	v_mov_b32_e32 v33, 0
	v_cmp_ne_u32_e32 vcc, 0, v24
	s_and_saveexec_b64 s[76:77], vcc
	s_cbranch_execz .LBB4_1102
; %bb.1095:                             ;   in Loop: Header=BB4_900 Depth=2
	v_bfe_u32 v24, v24, 23, 8
	v_cmp_gt_u32_e64 s[16:17], s49, v24
	v_sub_u32_e32 v29, 0x71, v24
	v_cmp_eq_u32_e32 vcc, 0, v24
	v_cndmask_b32_e64 v29, 0, v29, s[16:17]
	v_cndmask_b32_e32 v33, v29, v12, vcc
	v_or_b32_e32 v37, 0x800000, v27
	v_add_u32_e32 v29, 21, v33
	v_cndmask_b32_e32 v27, v37, v27, vcc
	v_lshlrev_b64 v[37:38], v29, -1
	v_add_u32_e32 v29, 20, v33
	v_bfi_b32 v37, v37, 0, v27
	v_lshlrev_b64 v[44:45], v29, 1
	v_lshrrev_b64 v[27:28], v33, v[27:28]
	v_bfi_b32 v38, v38, 0, 0
	v_cmp_eq_u64_e64 s[16:17], v[37:38], v[44:45]
	v_mov_b32_e32 v29, v28
	v_mov_b32_e32 v28, v27
	s_and_saveexec_b64 s[78:79], s[16:17]
; %bb.1096:                             ;   in Loop: Header=BB4_900 Depth=2
	v_bfe_u32 v28, v27, 21, 1
	v_add_co_u32_e64 v28, s[16:17], v27, v28
	v_add_co_u32_e64 v28, s[16:17], -1, v28
; %bb.1097:                             ;   in Loop: Header=BB4_900 Depth=2
	s_or_b64 exec, exec, s[78:79]
	v_add_u32_e32 v24, 0xffffff81, v24
	v_cndmask_b32_e32 v24, v24, v48, vcc
	v_lshrrev_b32_e32 v29, 23, v27
	v_add3_u32 v33, v33, v24, v29
	v_add_u32_e32 v29, 14, v33
	v_and_b32_e32 v24, 0x1fffff, v28
	v_add_u32_e32 v27, v24, v27
	v_mov_b32_e32 v28, v3
	v_cmp_ne_u32_e32 vcc, 0, v29
                                        ; implicit-def: $vgpr24
	s_and_saveexec_b64 s[16:17], vcc
	s_xor_b64 s[16:17], exec, s[16:17]
; %bb.1098:                             ;   in Loop: Header=BB4_900 Depth=2
	v_cmp_lt_u64_e32 vcc, s[60:61], v[27:28]
	v_add_u32_e32 v24, 15, v33
	v_cndmask_b32_e32 v24, v29, v24, vcc
	v_cndmask_b32_e64 v29, 0, 1, vcc
	v_lshrrev_b64 v[27:28], v29, v[27:28]
; %bb.1099:                             ;   in Loop: Header=BB4_900 Depth=2
	s_andn2_saveexec_b64 s[16:17], s[16:17]
; %bb.1100:                             ;   in Loop: Header=BB4_900 Depth=2
	v_bfe_u32 v24, v27, 23, 1
; %bb.1101:                             ;   in Loop: Header=BB4_900 Depth=2
	s_or_b64 exec, exec, s[16:17]
	v_lshrrev_b64 v[27:28], 21, v[27:28]
	v_cmp_gt_i32_e32 vcc, 32, v24
	v_cndmask_b32_e32 v28, 0, v28, vcc
	v_cndmask_b32_e32 v27, 3, v27, vcc
	v_cmp_eq_u32_e32 vcc, 0, v24
	v_min_i32_e32 v24, 31, v24
	v_cmp_eq_u64_e64 s[16:17], 0, v[27:28]
	v_lshlrev_b32_e32 v24, 2, v24
	v_and_b32_e32 v24, 0xfc, v24
	v_and_or_b32 v24, v27, 3, v24
	s_and_b64 s[16:17], vcc, s[16:17]
	v_cndmask_b32_e64 v24, v24, 0, s[16:17]
	v_or_b32_e32 v33, v24, v0
.LBB4_1102:                             ;   in Loop: Header=BB4_900 Depth=2
	s_or_b64 exec, exec, s[76:77]
                                        ; implicit-def: $vgpr0
.LBB4_1103:                             ;   in Loop: Header=BB4_900 Depth=2
	s_andn2_saveexec_b64 s[16:17], s[74:75]
; %bb.1104:                             ;   in Loop: Header=BB4_900 Depth=2
	v_or_b32_e32 v33, 0x7b, v0
; %bb.1105:                             ;   in Loop: Header=BB4_900 Depth=2
	s_or_b64 exec, exec, s[16:17]
                                        ; implicit-def: $vgpr24
                                        ; implicit-def: $vgpr27_vgpr28
.LBB4_1106:                             ;   in Loop: Header=BB4_900 Depth=2
	s_andn2_saveexec_b64 s[16:17], s[72:73]
	s_cbranch_execz .LBB4_1112
; %bb.1107:                             ;   in Loop: Header=BB4_900 Depth=2
	v_cmp_ne_u64_e32 vcc, 0, v[27:28]
                                        ; implicit-def: $vgpr33
	s_and_saveexec_b64 s[72:73], vcc
	s_xor_b64 s[72:73], exec, s[72:73]
; %bb.1108:                             ;   in Loop: Header=BB4_900 Depth=2
	v_or_b32_sdwa v33, v24, s50 dst_sel:DWORD dst_unused:UNUSED_PAD src0_sel:BYTE_3 src1_sel:DWORD
                                        ; implicit-def: $vgpr24
; %bb.1109:                             ;   in Loop: Header=BB4_900 Depth=2
	s_andn2_saveexec_b64 s[72:73], s[72:73]
; %bb.1110:                             ;   in Loop: Header=BB4_900 Depth=2
	v_cmp_lt_i32_e32 vcc, -1, v24
	v_cndmask_b32_e32 v33, v49, v11, vcc
; %bb.1111:                             ;   in Loop: Header=BB4_900 Depth=2
	s_or_b64 exec, exec, s[72:73]
.LBB4_1112:                             ;   in Loop: Header=BB4_900 Depth=2
	s_or_b64 exec, exec, s[16:17]
	v_cmp_lt_u32_e32 vcc, s47, v2
	v_mov_b32_e32 v24, 0
	s_and_saveexec_b64 s[16:17], vcc
	s_cbranch_execz .LBB4_1120
; %bb.1113:                             ;   in Loop: Header=BB4_900 Depth=2
	v_lshrrev_b32_e32 v0, 24, v2
	v_cmp_ne_u32_e32 vcc, s48, v0
	v_bfrev_b32_e32 v24, 1
	s_and_saveexec_b64 s[72:73], vcc
	s_cbranch_execz .LBB4_1119
; %bb.1114:                             ;   in Loop: Header=BB4_900 Depth=2
	v_and_b32_e32 v24, 0x7c000000, v2
	v_bfe_u32 v27, v2, 24, 2
	v_cmp_ne_u32_e32 vcc, s52, v24
                                        ; implicit-def: $vgpr24
	s_and_saveexec_b64 s[74:75], vcc
	s_xor_b64 s[74:75], exec, s[74:75]
	s_cbranch_execz .LBB4_1116
; %bb.1115:                             ;   in Loop: Header=BB4_900 Depth=2
	v_ffbh_u32_e32 v28, v27
	v_min_u32_e32 v37, 32, v28
	v_subrev_u32_e32 v28, 29, v37
	v_bfe_u32 v24, v2, 26, 5
	v_lshlrev_b64 v[28:29], v28, v[0:1]
	v_sub_u32_e32 v0, 30, v37
	v_cmp_eq_u32_e32 vcc, 0, v24
	v_and_b32_e32 v28, 3, v28
	v_cndmask_b32_e32 v0, v24, v0, vcc
	v_and_b32_e32 v2, 0x80000000, v2
	v_cndmask_b32_e32 v24, v27, v28, vcc
	v_lshl_add_u32 v0, v0, 23, v2
	v_lshl_or_b32 v0, v24, 21, v0
	v_add_u32_e32 v24, 0x38000000, v0
                                        ; implicit-def: $vgpr27
.LBB4_1116:                             ;   in Loop: Header=BB4_900 Depth=2
	s_andn2_saveexec_b64 s[74:75], s[74:75]
; %bb.1117:                             ;   in Loop: Header=BB4_900 Depth=2
	v_cmp_lt_i32_e32 vcc, -1, v2
	v_cndmask_b32_e32 v0, v8, v54, vcc
	v_cmp_eq_u32_e32 vcc, 0, v27
	v_cndmask_b32_e32 v24, v55, v0, vcc
; %bb.1118:                             ;   in Loop: Header=BB4_900 Depth=2
	s_or_b64 exec, exec, s[74:75]
.LBB4_1119:                             ;   in Loop: Header=BB4_900 Depth=2
	s_or_b64 exec, exec, s[72:73]
.LBB4_1120:                             ;   in Loop: Header=BB4_900 Depth=2
	s_or_b64 exec, exec, s[16:17]
	v_mul_f32_e32 v27, v62, v24
	v_and_b32_e32 v28, 0x7f800000, v27
	v_mov_b32_e32 v29, v3
	v_cmp_ne_u64_e32 vcc, s[56:57], v[28:29]
	v_and_b32_e32 v2, 0x7fffff, v27
                                        ; implicit-def: $vgpr24
	s_and_saveexec_b64 s[16:17], vcc
	s_xor_b64 s[72:73], exec, s[16:17]
	s_cbranch_execz .LBB4_1134
; %bb.1121:                             ;   in Loop: Header=BB4_900 Depth=2
	v_and_b32_e32 v28, 0x7fffffff, v27
	v_mov_b32_e32 v29, v3
	v_cmp_gt_u64_e32 vcc, s[58:59], v[28:29]
	v_and_b32_sdwa v0, v27, s48 dst_sel:DWORD dst_unused:UNUSED_PAD src0_sel:BYTE_3 src1_sel:DWORD
                                        ; implicit-def: $vgpr24
	s_and_saveexec_b64 s[16:17], vcc
	s_xor_b64 s[74:75], exec, s[16:17]
	s_cbranch_execz .LBB4_1131
; %bb.1122:                             ;   in Loop: Header=BB4_900 Depth=2
	v_mov_b32_e32 v24, 0
	v_cmp_ne_u32_e32 vcc, 0, v27
	s_and_saveexec_b64 s[76:77], vcc
	s_cbranch_execz .LBB4_1130
; %bb.1123:                             ;   in Loop: Header=BB4_900 Depth=2
	v_bfe_u32 v24, v27, 23, 8
	v_cmp_gt_u32_e64 s[16:17], s49, v24
	v_sub_u32_e32 v27, 0x71, v24
	v_cmp_eq_u32_e32 vcc, 0, v24
	v_cndmask_b32_e64 v27, 0, v27, s[16:17]
	v_cndmask_b32_e32 v37, v27, v12, vcc
	v_or_b32_e32 v28, 0x800000, v2
	v_add_u32_e32 v27, 21, v37
	v_cndmask_b32_e32 v2, v28, v2, vcc
	v_lshlrev_b64 v[27:28], v27, -1
	v_add_u32_e32 v29, 20, v37
	v_lshlrev_b64 v[38:39], v29, 1
	v_bfi_b32 v28, v28, 0, 0
	v_bfi_b32 v27, v27, 0, v2
	v_cmp_eq_u64_e64 s[16:17], v[27:28], v[38:39]
	v_lshrrev_b64 v[27:28], v37, v[2:3]
	v_mov_b32_e32 v29, v28
	v_mov_b32_e32 v28, v27
	s_and_saveexec_b64 s[78:79], s[16:17]
; %bb.1124:                             ;   in Loop: Header=BB4_900 Depth=2
	v_bfe_u32 v2, v27, 21, 1
	v_add_co_u32_e64 v2, s[16:17], v27, v2
	v_add_co_u32_e64 v28, s[16:17], -1, v2
; %bb.1125:                             ;   in Loop: Header=BB4_900 Depth=2
	s_or_b64 exec, exec, s[78:79]
	v_add_u32_e32 v2, 0xffffff81, v24
	v_cndmask_b32_e32 v2, v2, v48, vcc
	v_lshrrev_b32_e32 v24, 23, v27
	v_add3_u32 v37, v37, v2, v24
	v_add_u32_e32 v29, 14, v37
	v_and_b32_e32 v2, 0x1fffff, v28
	v_add_u32_e32 v2, v2, v27
	v_cmp_ne_u32_e32 vcc, 0, v29
                                        ; implicit-def: $vgpr27_vgpr28
                                        ; implicit-def: $vgpr24
	s_and_saveexec_b64 s[16:17], vcc
	s_xor_b64 s[16:17], exec, s[16:17]
; %bb.1126:                             ;   in Loop: Header=BB4_900 Depth=2
	v_cmp_lt_u64_e32 vcc, s[60:61], v[2:3]
	v_add_u32_e32 v24, 15, v37
	v_cndmask_b32_e64 v27, 0, 1, vcc
	v_cndmask_b32_e32 v24, v29, v24, vcc
	v_lshrrev_b64 v[27:28], v27, v[2:3]
; %bb.1127:                             ;   in Loop: Header=BB4_900 Depth=2
	s_andn2_saveexec_b64 s[16:17], s[16:17]
; %bb.1128:                             ;   in Loop: Header=BB4_900 Depth=2
	v_mov_b32_e32 v28, v3
	v_bfe_u32 v24, v2, 23, 1
	v_mov_b32_e32 v27, v2
; %bb.1129:                             ;   in Loop: Header=BB4_900 Depth=2
	s_or_b64 exec, exec, s[16:17]
	v_lshrrev_b64 v[27:28], 21, v[27:28]
	v_cmp_gt_i32_e32 vcc, 32, v24
	v_cndmask_b32_e32 v28, 0, v28, vcc
	v_cndmask_b32_e32 v27, 3, v27, vcc
	v_min_i32_e32 v2, 31, v24
	v_cmp_eq_u64_e64 s[16:17], 0, v[27:28]
	v_lshlrev_b32_e32 v2, 2, v2
	v_cmp_eq_u32_e32 vcc, 0, v24
	v_and_b32_e32 v2, 0xfc, v2
	v_and_or_b32 v2, v27, 3, v2
	s_and_b64 s[16:17], vcc, s[16:17]
	v_cndmask_b32_e64 v2, v2, 0, s[16:17]
	v_or_b32_e32 v24, v2, v0
.LBB4_1130:                             ;   in Loop: Header=BB4_900 Depth=2
	s_or_b64 exec, exec, s[76:77]
                                        ; implicit-def: $vgpr0
.LBB4_1131:                             ;   in Loop: Header=BB4_900 Depth=2
	s_andn2_saveexec_b64 s[16:17], s[74:75]
; %bb.1132:                             ;   in Loop: Header=BB4_900 Depth=2
	v_or_b32_e32 v24, 0x7b, v0
; %bb.1133:                             ;   in Loop: Header=BB4_900 Depth=2
	s_or_b64 exec, exec, s[16:17]
                                        ; implicit-def: $vgpr27
.LBB4_1134:                             ;   in Loop: Header=BB4_900 Depth=2
	s_andn2_saveexec_b64 s[16:17], s[72:73]
	s_cbranch_execz .LBB4_1140
; %bb.1135:                             ;   in Loop: Header=BB4_900 Depth=2
	v_cmp_ne_u64_e32 vcc, 0, v[2:3]
                                        ; implicit-def: $vgpr24
	s_and_saveexec_b64 s[72:73], vcc
	s_xor_b64 s[72:73], exec, s[72:73]
; %bb.1136:                             ;   in Loop: Header=BB4_900 Depth=2
	v_or_b32_sdwa v24, v27, s50 dst_sel:DWORD dst_unused:UNUSED_PAD src0_sel:BYTE_3 src1_sel:DWORD
                                        ; implicit-def: $vgpr27
; %bb.1137:                             ;   in Loop: Header=BB4_900 Depth=2
	s_andn2_saveexec_b64 s[72:73], s[72:73]
; %bb.1138:                             ;   in Loop: Header=BB4_900 Depth=2
	v_cmp_lt_i32_e32 vcc, -1, v27
	v_cndmask_b32_e32 v24, v49, v11, vcc
; %bb.1139:                             ;   in Loop: Header=BB4_900 Depth=2
	s_or_b64 exec, exec, s[72:73]
.LBB4_1140:                             ;   in Loop: Header=BB4_900 Depth=2
	s_or_b64 exec, exec, s[16:17]
	s_waitcnt vmcnt(0)
	v_cmp_ne_u16_sdwa s[72:73], v17, v3 src0_sel:BYTE_0 src1_sel:DWORD
	v_mov_b32_e32 v28, 0
	v_mov_b32_e32 v27, 0
	s_and_saveexec_b64 s[16:17], s[72:73]
	s_cbranch_execz .LBB4_1148
; %bb.1141:                             ;   in Loop: Header=BB4_900 Depth=2
	v_cmp_ne_u16_sdwa s[74:75], sext(v17), s38 src0_sel:BYTE_0 src1_sel:DWORD
	v_bfrev_b32_e32 v27, 1
	s_and_saveexec_b64 s[72:73], s[74:75]
	s_cbranch_execz .LBB4_1147
; %bb.1142:                             ;   in Loop: Header=BB4_900 Depth=2
	v_and_b32_e32 v2, 0x7c, v17
	v_and_b32_e32 v0, 3, v17
	v_cmp_ne_u32_e32 vcc, s39, v2
                                        ; implicit-def: $vgpr27
	s_and_saveexec_b64 s[74:75], vcc
	s_xor_b64 s[74:75], exec, s[74:75]
	s_cbranch_execz .LBB4_1144
; %bb.1143:                             ;   in Loop: Header=BB4_900 Depth=2
	v_ffbh_u32_e32 v27, v0
	v_min_u32_e32 v27, 32, v27
	v_bfe_u32 v2, v17, 2, 5
	v_subrev_u32_e32 v29, 29, v27
	v_lshlrev_b64 v[37:38], v29, v[17:18]
	v_sub_u32_e32 v18, 30, v27
	v_cmp_eq_u32_e32 vcc, 0, v2
	v_cndmask_b32_e32 v2, v2, v18, vcc
	v_lshlrev_b32_e32 v18, 24, v17
	v_and_b32_e32 v27, 3, v37
	v_and_b32_e32 v18, 0x80000000, v18
	v_cndmask_b32_e32 v0, v0, v27, vcc
	v_lshl_add_u32 v2, v2, 23, v18
	v_lshl_or_b32 v0, v0, 21, v2
	v_add_u32_e32 v27, 0x38000000, v0
                                        ; implicit-def: $vgpr0
.LBB4_1144:                             ;   in Loop: Header=BB4_900 Depth=2
	s_andn2_saveexec_b64 s[74:75], s[74:75]
; %bb.1145:                             ;   in Loop: Header=BB4_900 Depth=2
	v_cmp_gt_i16_sdwa vcc, sext(v17), v7 src0_sel:BYTE_0 src1_sel:DWORD
	v_cndmask_b32_e32 v2, v8, v54, vcc
	v_cmp_eq_u32_e32 vcc, 0, v0
	v_cndmask_b32_e32 v27, v55, v2, vcc
; %bb.1146:                             ;   in Loop: Header=BB4_900 Depth=2
	s_or_b64 exec, exec, s[74:75]
.LBB4_1147:                             ;   in Loop: Header=BB4_900 Depth=2
	s_or_b64 exec, exec, s[72:73]
.LBB4_1148:                             ;   in Loop: Header=BB4_900 Depth=2
	s_or_b64 exec, exec, s[16:17]
	v_lshl_or_b32 v0, v23, 8, v10
	v_lshlrev_b32_e32 v2, 16, v31
	v_lshlrev_b32_e32 v18, 24, v36
	v_or3_b32 v2, v2, v18, v0
	v_cmp_ne_u32_e32 vcc, 0, v10
	s_and_saveexec_b64 s[72:73], vcc
	s_cbranch_execz .LBB4_1156
; %bb.1149:                             ;   in Loop: Header=BB4_900 Depth=2
	v_cmp_ne_u32_e32 vcc, s48, v10
	v_bfrev_b32_e32 v28, 1
	s_and_saveexec_b64 s[74:75], vcc
	s_cbranch_execz .LBB4_1155
; %bb.1150:                             ;   in Loop: Header=BB4_900 Depth=2
	v_and_b32_e32 v23, 0x7c, v10
	v_and_b32_e32 v18, 3, v10
	v_cmp_ne_u32_e32 vcc, s39, v23
                                        ; implicit-def: $vgpr28
	s_and_saveexec_b64 s[16:17], vcc
	s_xor_b64 s[16:17], exec, s[16:17]
	s_cbranch_execz .LBB4_1152
; %bb.1151:                             ;   in Loop: Header=BB4_900 Depth=2
	v_ffbh_u32_e32 v28, v18
	v_min_u32_e32 v31, 32, v28
	v_subrev_u32_e32 v28, 29, v31
	v_bfe_u32 v23, v10, 2, 5
	v_lshlrev_b64 v[28:29], v28, v[2:3]
	v_sub_u32_e32 v29, 30, v31
	v_cmp_eq_u32_e32 vcc, 0, v23
	v_lshlrev_b32_e32 v10, 24, v10
	v_and_b32_e32 v28, 3, v28
	v_cndmask_b32_e32 v23, v23, v29, vcc
	v_and_b32_e32 v10, 0x80000000, v10
	v_cndmask_b32_e32 v18, v18, v28, vcc
	v_lshl_add_u32 v10, v23, 23, v10
	v_lshl_or_b32 v10, v18, 21, v10
	v_add_u32_e32 v28, 0x38000000, v10
                                        ; implicit-def: $vgpr18
                                        ; implicit-def: $vgpr10
.LBB4_1152:                             ;   in Loop: Header=BB4_900 Depth=2
	s_andn2_saveexec_b64 s[76:77], s[16:17]
; %bb.1153:                             ;   in Loop: Header=BB4_900 Depth=2
	v_and_b32_e32 v10, 0x80, v10
	v_cmp_eq_u32_e64 s[16:17], 0, v10
	v_cmp_eq_u32_e32 vcc, 0, v18
	v_cndmask_b32_e64 v10, v8, v54, s[16:17]
	v_cndmask_b32_e32 v28, v55, v10, vcc
; %bb.1154:                             ;   in Loop: Header=BB4_900 Depth=2
	s_or_b64 exec, exec, s[76:77]
.LBB4_1155:                             ;   in Loop: Header=BB4_900 Depth=2
	s_or_b64 exec, exec, s[74:75]
.LBB4_1156:                             ;   in Loop: Header=BB4_900 Depth=2
	s_or_b64 exec, exec, s[72:73]
	v_add_f32_e32 v23, v27, v28
	v_and_b32_e32 v28, 0x7f800000, v23
	v_mov_b32_e32 v29, v3
	v_cmp_ne_u64_e32 vcc, s[56:57], v[28:29]
	v_and_b32_e32 v27, 0x7fffff, v23
	v_mov_b32_e32 v28, v3
                                        ; implicit-def: $vgpr10
	s_and_saveexec_b64 s[16:17], vcc
	s_xor_b64 s[72:73], exec, s[16:17]
	s_cbranch_execz .LBB4_1170
; %bb.1157:                             ;   in Loop: Header=BB4_900 Depth=2
	v_and_b32_e32 v36, 0x7fffffff, v23
	v_mov_b32_e32 v37, v3
	v_cmp_gt_u64_e32 vcc, s[58:59], v[36:37]
	v_and_b32_sdwa v18, v23, s48 dst_sel:DWORD dst_unused:UNUSED_PAD src0_sel:BYTE_3 src1_sel:DWORD
                                        ; implicit-def: $vgpr10
	s_and_saveexec_b64 s[16:17], vcc
	s_xor_b64 s[74:75], exec, s[16:17]
	s_cbranch_execz .LBB4_1167
; %bb.1158:                             ;   in Loop: Header=BB4_900 Depth=2
	v_mov_b32_e32 v10, 0
	v_cmp_ne_u32_e32 vcc, 0, v23
	s_and_saveexec_b64 s[76:77], vcc
	s_cbranch_execz .LBB4_1166
; %bb.1159:                             ;   in Loop: Header=BB4_900 Depth=2
	v_bfe_u32 v10, v23, 23, 8
	v_cmp_gt_u32_e64 s[16:17], s49, v10
	v_sub_u32_e32 v23, 0x71, v10
	v_cmp_eq_u32_e32 vcc, 0, v10
	v_cndmask_b32_e64 v23, 0, v23, s[16:17]
	v_or_b32_e32 v29, 0x800000, v27
	v_cndmask_b32_e32 v23, v23, v12, vcc
	v_cndmask_b32_e32 v27, v29, v27, vcc
	v_add_u32_e32 v29, 21, v23
	v_lshlrev_b64 v[36:37], v29, -1
	v_add_u32_e32 v29, 20, v23
	v_bfi_b32 v36, v36, 0, v27
	v_lshlrev_b64 v[38:39], v29, 1
	v_lshrrev_b64 v[27:28], v23, v[27:28]
	v_bfi_b32 v37, v37, 0, 0
	v_cmp_eq_u64_e64 s[16:17], v[36:37], v[38:39]
	v_mov_b32_e32 v29, v28
	v_mov_b32_e32 v28, v27
	s_and_saveexec_b64 s[78:79], s[16:17]
; %bb.1160:                             ;   in Loop: Header=BB4_900 Depth=2
	v_bfe_u32 v28, v27, 21, 1
	v_add_co_u32_e64 v28, s[16:17], v27, v28
	v_add_co_u32_e64 v28, s[16:17], -1, v28
; %bb.1161:                             ;   in Loop: Header=BB4_900 Depth=2
	s_or_b64 exec, exec, s[78:79]
	v_add_u32_e32 v10, 0xffffff81, v10
	v_cndmask_b32_e32 v10, v10, v48, vcc
	v_lshrrev_b32_e32 v29, 23, v27
	v_add3_u32 v29, v23, v10, v29
	v_add_u32_e32 v23, 14, v29
	v_and_b32_e32 v10, 0x1fffff, v28
	v_add_u32_e32 v27, v10, v27
	v_mov_b32_e32 v28, v3
	v_cmp_ne_u32_e32 vcc, 0, v23
                                        ; implicit-def: $vgpr10
	s_and_saveexec_b64 s[16:17], vcc
	s_xor_b64 s[16:17], exec, s[16:17]
; %bb.1162:                             ;   in Loop: Header=BB4_900 Depth=2
	v_cmp_lt_u64_e32 vcc, s[60:61], v[27:28]
	v_add_u32_e32 v10, 15, v29
	v_cndmask_b32_e32 v10, v23, v10, vcc
	v_cndmask_b32_e64 v23, 0, 1, vcc
	v_lshrrev_b64 v[27:28], v23, v[27:28]
; %bb.1163:                             ;   in Loop: Header=BB4_900 Depth=2
	s_andn2_saveexec_b64 s[16:17], s[16:17]
; %bb.1164:                             ;   in Loop: Header=BB4_900 Depth=2
	v_bfe_u32 v10, v27, 23, 1
; %bb.1165:                             ;   in Loop: Header=BB4_900 Depth=2
	s_or_b64 exec, exec, s[16:17]
	v_lshrrev_b64 v[27:28], 21, v[27:28]
	v_cmp_gt_i32_e32 vcc, 32, v10
	v_cndmask_b32_e32 v28, 0, v28, vcc
	v_cndmask_b32_e32 v27, 3, v27, vcc
	v_cmp_eq_u32_e32 vcc, 0, v10
	v_min_i32_e32 v10, 31, v10
	v_cmp_eq_u64_e64 s[16:17], 0, v[27:28]
	v_lshlrev_b32_e32 v10, 2, v10
	v_and_b32_e32 v10, 0xfc, v10
	v_and_or_b32 v10, v27, 3, v10
	s_and_b64 s[16:17], vcc, s[16:17]
	v_cndmask_b32_e64 v10, v10, 0, s[16:17]
	v_or_b32_e32 v10, v10, v18
.LBB4_1166:                             ;   in Loop: Header=BB4_900 Depth=2
	s_or_b64 exec, exec, s[76:77]
                                        ; implicit-def: $vgpr18
.LBB4_1167:                             ;   in Loop: Header=BB4_900 Depth=2
	s_andn2_saveexec_b64 s[16:17], s[74:75]
; %bb.1168:                             ;   in Loop: Header=BB4_900 Depth=2
	v_or_b32_e32 v10, 0x7b, v18
; %bb.1169:                             ;   in Loop: Header=BB4_900 Depth=2
	s_or_b64 exec, exec, s[16:17]
                                        ; implicit-def: $vgpr23
                                        ; implicit-def: $vgpr27_vgpr28
.LBB4_1170:                             ;   in Loop: Header=BB4_900 Depth=2
	s_andn2_saveexec_b64 s[16:17], s[72:73]
	s_cbranch_execz .LBB4_1176
; %bb.1171:                             ;   in Loop: Header=BB4_900 Depth=2
	v_cmp_ne_u64_e32 vcc, 0, v[27:28]
                                        ; implicit-def: $vgpr10
	s_and_saveexec_b64 s[72:73], vcc
	s_xor_b64 s[72:73], exec, s[72:73]
; %bb.1172:                             ;   in Loop: Header=BB4_900 Depth=2
	v_or_b32_sdwa v10, v23, s50 dst_sel:DWORD dst_unused:UNUSED_PAD src0_sel:BYTE_3 src1_sel:DWORD
                                        ; implicit-def: $vgpr23
; %bb.1173:                             ;   in Loop: Header=BB4_900 Depth=2
	s_andn2_saveexec_b64 s[72:73], s[72:73]
; %bb.1174:                             ;   in Loop: Header=BB4_900 Depth=2
	v_cmp_lt_i32_e32 vcc, -1, v23
	v_cndmask_b32_e32 v10, v49, v11, vcc
; %bb.1175:                             ;   in Loop: Header=BB4_900 Depth=2
	s_or_b64 exec, exec, s[72:73]
.LBB4_1176:                             ;   in Loop: Header=BB4_900 Depth=2
	s_or_b64 exec, exec, s[16:17]
	v_lshrrev_b16_e32 v27, 8, v17
	v_cmp_ne_u16_e32 vcc, 0, v27
	v_mov_b32_e32 v18, 0
	v_mov_b32_e32 v23, 0
	s_and_saveexec_b64 s[16:17], vcc
	s_cbranch_execz .LBB4_1184
; %bb.1177:                             ;   in Loop: Header=BB4_900 Depth=2
	v_cmp_ne_u16_e32 vcc, s48, v27
	v_bfrev_b32_e32 v23, 1
	s_and_saveexec_b64 s[72:73], vcc
	s_cbranch_execz .LBB4_1183
; %bb.1178:                             ;   in Loop: Header=BB4_900 Depth=2
	v_and_b32_e32 v23, 0x7c, v27
	v_and_b32_e32 v29, 3, v27
	v_cmp_ne_u32_e32 vcc, s39, v23
                                        ; implicit-def: $vgpr23
	s_and_saveexec_b64 s[74:75], vcc
	s_xor_b64 s[74:75], exec, s[74:75]
	s_cbranch_execz .LBB4_1180
; %bb.1179:                             ;   in Loop: Header=BB4_900 Depth=2
	v_ffbh_u32_e32 v31, v29
	v_min_u32_e32 v31, 32, v31
	v_mov_b32_e32 v28, v3
	v_subrev_u32_e32 v36, 29, v31
	v_bfe_u32 v23, v27, 2, 5
	v_lshlrev_b64 v[27:28], v36, v[27:28]
	v_sub_u32_e32 v28, 30, v31
	v_cmp_eq_u32_e32 vcc, 0, v23
	v_cndmask_b32_e32 v23, v23, v28, vcc
	v_lshlrev_b32_e32 v28, 16, v17
	v_and_b32_e32 v27, 3, v27
	v_and_b32_e32 v28, 0x80000000, v28
	v_cndmask_b32_e32 v27, v29, v27, vcc
	v_lshl_add_u32 v23, v23, 23, v28
	v_lshl_or_b32 v23, v27, 21, v23
	v_add_u32_e32 v23, 0x38000000, v23
                                        ; implicit-def: $vgpr29
.LBB4_1180:                             ;   in Loop: Header=BB4_900 Depth=2
	s_andn2_saveexec_b64 s[74:75], s[74:75]
; %bb.1181:                             ;   in Loop: Header=BB4_900 Depth=2
	v_cmp_lt_i16_e32 vcc, -1, v17
	v_cndmask_b32_e32 v23, v8, v54, vcc
	v_cmp_eq_u32_e32 vcc, 0, v29
	v_cndmask_b32_e32 v23, v55, v23, vcc
; %bb.1182:                             ;   in Loop: Header=BB4_900 Depth=2
	s_or_b64 exec, exec, s[74:75]
.LBB4_1183:                             ;   in Loop: Header=BB4_900 Depth=2
	s_or_b64 exec, exec, s[72:73]
.LBB4_1184:                             ;   in Loop: Header=BB4_900 Depth=2
	s_or_b64 exec, exec, s[16:17]
	v_lshrrev_b16_e32 v27, 8, v0
	v_cmp_ne_u16_e32 vcc, 0, v27
	s_and_saveexec_b64 s[16:17], vcc
	s_cbranch_execz .LBB4_1192
; %bb.1185:                             ;   in Loop: Header=BB4_900 Depth=2
	v_cmp_ne_u16_e32 vcc, s48, v27
	v_bfrev_b32_e32 v18, 1
	s_and_saveexec_b64 s[72:73], vcc
	s_cbranch_execz .LBB4_1191
; %bb.1186:                             ;   in Loop: Header=BB4_900 Depth=2
	v_and_b32_e32 v18, 0x7c, v27
	v_and_b32_e32 v29, 3, v27
	v_cmp_ne_u32_e32 vcc, s39, v18
                                        ; implicit-def: $vgpr18
	s_and_saveexec_b64 s[74:75], vcc
	s_xor_b64 s[74:75], exec, s[74:75]
	s_cbranch_execz .LBB4_1188
; %bb.1187:                             ;   in Loop: Header=BB4_900 Depth=2
	v_ffbh_u32_e32 v31, v29
	v_min_u32_e32 v31, 32, v31
	v_mov_b32_e32 v28, v3
	v_subrev_u32_e32 v36, 29, v31
	v_bfe_u32 v18, v27, 2, 5
	v_lshlrev_b64 v[27:28], v36, v[27:28]
	v_sub_u32_e32 v28, 30, v31
	v_cmp_eq_u32_e32 vcc, 0, v18
	v_lshlrev_b32_e32 v0, 16, v0
	v_and_b32_e32 v27, 3, v27
	v_cndmask_b32_e32 v18, v18, v28, vcc
	v_and_b32_e32 v0, 0x80000000, v0
	v_cndmask_b32_e32 v27, v29, v27, vcc
	v_lshl_add_u32 v0, v18, 23, v0
	v_lshl_or_b32 v0, v27, 21, v0
	v_add_u32_e32 v18, 0x38000000, v0
                                        ; implicit-def: $vgpr29
                                        ; implicit-def: $vgpr0
.LBB4_1188:                             ;   in Loop: Header=BB4_900 Depth=2
	s_andn2_saveexec_b64 s[74:75], s[74:75]
; %bb.1189:                             ;   in Loop: Header=BB4_900 Depth=2
	v_cmp_lt_i16_e32 vcc, -1, v0
	v_cndmask_b32_e32 v0, v8, v54, vcc
	v_cmp_eq_u32_e32 vcc, 0, v29
	v_cndmask_b32_e32 v18, v55, v0, vcc
; %bb.1190:                             ;   in Loop: Header=BB4_900 Depth=2
	s_or_b64 exec, exec, s[74:75]
.LBB4_1191:                             ;   in Loop: Header=BB4_900 Depth=2
	s_or_b64 exec, exec, s[72:73]
.LBB4_1192:                             ;   in Loop: Header=BB4_900 Depth=2
	s_or_b64 exec, exec, s[16:17]
	v_add_f32_e32 v18, v23, v18
	v_and_b32_e32 v28, 0x7f800000, v18
	v_mov_b32_e32 v29, v3
	v_cmp_ne_u64_e32 vcc, s[56:57], v[28:29]
	v_and_b32_e32 v27, 0x7fffff, v18
	v_mov_b32_e32 v28, v3
                                        ; implicit-def: $vgpr31
	s_and_saveexec_b64 s[16:17], vcc
	s_xor_b64 s[72:73], exec, s[16:17]
	s_cbranch_execz .LBB4_1206
; %bb.1193:                             ;   in Loop: Header=BB4_900 Depth=2
	v_and_b32_e32 v36, 0x7fffffff, v18
	v_mov_b32_e32 v37, v3
	v_cmp_gt_u64_e32 vcc, s[58:59], v[36:37]
	v_and_b32_sdwa v0, v18, s48 dst_sel:DWORD dst_unused:UNUSED_PAD src0_sel:BYTE_3 src1_sel:DWORD
                                        ; implicit-def: $vgpr31
	s_and_saveexec_b64 s[16:17], vcc
	s_xor_b64 s[74:75], exec, s[16:17]
	s_cbranch_execz .LBB4_1203
; %bb.1194:                             ;   in Loop: Header=BB4_900 Depth=2
	v_mov_b32_e32 v31, 0
	v_cmp_ne_u32_e32 vcc, 0, v18
	s_and_saveexec_b64 s[76:77], vcc
	s_cbranch_execz .LBB4_1202
; %bb.1195:                             ;   in Loop: Header=BB4_900 Depth=2
	v_bfe_u32 v18, v18, 23, 8
	v_cmp_gt_u32_e64 s[16:17], s49, v18
	v_sub_u32_e32 v23, 0x71, v18
	v_cmp_eq_u32_e32 vcc, 0, v18
	v_cndmask_b32_e64 v23, 0, v23, s[16:17]
	v_or_b32_e32 v29, 0x800000, v27
	v_cndmask_b32_e32 v23, v23, v12, vcc
	v_cndmask_b32_e32 v27, v29, v27, vcc
	v_add_u32_e32 v29, 21, v23
	v_lshlrev_b64 v[36:37], v29, -1
	v_add_u32_e32 v29, 20, v23
	v_bfi_b32 v36, v36, 0, v27
	v_lshlrev_b64 v[38:39], v29, 1
	v_lshrrev_b64 v[27:28], v23, v[27:28]
	v_bfi_b32 v37, v37, 0, 0
	v_cmp_eq_u64_e64 s[16:17], v[36:37], v[38:39]
	v_mov_b32_e32 v29, v28
	v_mov_b32_e32 v28, v27
	s_and_saveexec_b64 s[78:79], s[16:17]
; %bb.1196:                             ;   in Loop: Header=BB4_900 Depth=2
	v_bfe_u32 v28, v27, 21, 1
	v_add_co_u32_e64 v28, s[16:17], v27, v28
	v_add_co_u32_e64 v28, s[16:17], -1, v28
; %bb.1197:                             ;   in Loop: Header=BB4_900 Depth=2
	s_or_b64 exec, exec, s[78:79]
	v_add_u32_e32 v18, 0xffffff81, v18
	v_cndmask_b32_e32 v18, v18, v48, vcc
	v_lshrrev_b32_e32 v29, 23, v27
	v_add3_u32 v29, v23, v18, v29
	v_add_u32_e32 v23, 14, v29
	v_and_b32_e32 v18, 0x1fffff, v28
	v_add_u32_e32 v27, v18, v27
	v_mov_b32_e32 v28, v3
	v_cmp_ne_u32_e32 vcc, 0, v23
                                        ; implicit-def: $vgpr18
	s_and_saveexec_b64 s[16:17], vcc
	s_xor_b64 s[16:17], exec, s[16:17]
; %bb.1198:                             ;   in Loop: Header=BB4_900 Depth=2
	v_cmp_lt_u64_e32 vcc, s[60:61], v[27:28]
	v_add_u32_e32 v18, 15, v29
	v_cndmask_b32_e32 v18, v23, v18, vcc
	v_cndmask_b32_e64 v23, 0, 1, vcc
	v_lshrrev_b64 v[27:28], v23, v[27:28]
; %bb.1199:                             ;   in Loop: Header=BB4_900 Depth=2
	s_andn2_saveexec_b64 s[16:17], s[16:17]
; %bb.1200:                             ;   in Loop: Header=BB4_900 Depth=2
	v_bfe_u32 v18, v27, 23, 1
; %bb.1201:                             ;   in Loop: Header=BB4_900 Depth=2
	s_or_b64 exec, exec, s[16:17]
	v_lshrrev_b64 v[27:28], 21, v[27:28]
	v_cmp_gt_i32_e32 vcc, 32, v18
	v_cndmask_b32_e32 v28, 0, v28, vcc
	v_cndmask_b32_e32 v27, 3, v27, vcc
	v_cmp_eq_u32_e32 vcc, 0, v18
	v_min_i32_e32 v18, 31, v18
	v_cmp_eq_u64_e64 s[16:17], 0, v[27:28]
	v_lshlrev_b32_e32 v18, 2, v18
	v_and_b32_e32 v18, 0xfc, v18
	v_and_or_b32 v18, v27, 3, v18
	s_and_b64 s[16:17], vcc, s[16:17]
	v_cndmask_b32_e64 v18, v18, 0, s[16:17]
	v_or_b32_e32 v31, v18, v0
.LBB4_1202:                             ;   in Loop: Header=BB4_900 Depth=2
	s_or_b64 exec, exec, s[76:77]
                                        ; implicit-def: $vgpr0
.LBB4_1203:                             ;   in Loop: Header=BB4_900 Depth=2
	s_andn2_saveexec_b64 s[16:17], s[74:75]
; %bb.1204:                             ;   in Loop: Header=BB4_900 Depth=2
	v_or_b32_e32 v31, 0x7b, v0
; %bb.1205:                             ;   in Loop: Header=BB4_900 Depth=2
	s_or_b64 exec, exec, s[16:17]
                                        ; implicit-def: $vgpr18
                                        ; implicit-def: $vgpr27_vgpr28
.LBB4_1206:                             ;   in Loop: Header=BB4_900 Depth=2
	s_andn2_saveexec_b64 s[16:17], s[72:73]
	s_cbranch_execz .LBB4_1212
; %bb.1207:                             ;   in Loop: Header=BB4_900 Depth=2
	v_cmp_ne_u64_e32 vcc, 0, v[27:28]
                                        ; implicit-def: $vgpr31
	s_and_saveexec_b64 s[72:73], vcc
	s_xor_b64 s[72:73], exec, s[72:73]
; %bb.1208:                             ;   in Loop: Header=BB4_900 Depth=2
	v_or_b32_sdwa v31, v18, s50 dst_sel:DWORD dst_unused:UNUSED_PAD src0_sel:BYTE_3 src1_sel:DWORD
                                        ; implicit-def: $vgpr18
; %bb.1209:                             ;   in Loop: Header=BB4_900 Depth=2
	s_andn2_saveexec_b64 s[72:73], s[72:73]
; %bb.1210:                             ;   in Loop: Header=BB4_900 Depth=2
	v_cmp_lt_i32_e32 vcc, -1, v18
	v_cndmask_b32_e32 v31, v49, v11, vcc
; %bb.1211:                             ;   in Loop: Header=BB4_900 Depth=2
	s_or_b64 exec, exec, s[72:73]
.LBB4_1212:                             ;   in Loop: Header=BB4_900 Depth=2
	s_or_b64 exec, exec, s[16:17]
	v_lshrrev_b32_e32 v0, 16, v17
	v_cmp_ne_u16_sdwa s[72:73], v0, v3 src0_sel:BYTE_0 src1_sel:DWORD
	v_mov_b32_e32 v23, 0
	v_mov_b32_e32 v18, 0
	s_and_saveexec_b64 s[16:17], s[72:73]
	s_cbranch_execz .LBB4_1220
; %bb.1213:                             ;   in Loop: Header=BB4_900 Depth=2
	v_cmp_ne_u16_sdwa s[74:75], v0, s48 src0_sel:BYTE_0 src1_sel:DWORD
	v_bfrev_b32_e32 v18, 1
	s_and_saveexec_b64 s[72:73], s[74:75]
	s_cbranch_execz .LBB4_1219
; %bb.1214:                             ;   in Loop: Header=BB4_900 Depth=2
	v_and_b32_e32 v18, 0x7c0000, v17
	v_bfe_u32 v27, v17, 16, 2
	v_cmp_ne_u32_e32 vcc, s51, v18
                                        ; implicit-def: $vgpr18
	s_and_saveexec_b64 s[74:75], vcc
	s_xor_b64 s[74:75], exec, s[74:75]
	s_cbranch_execz .LBB4_1216
; %bb.1215:                             ;   in Loop: Header=BB4_900 Depth=2
	v_ffbh_u32_e32 v28, v27
	v_min_u32_e32 v36, 32, v28
	v_subrev_u32_e32 v28, 29, v36
	v_lshlrev_b64 v[28:29], v28, v[0:1]
	v_bfe_u32 v18, v17, 18, 5
	v_sub_u32_e32 v0, 30, v36
	v_and_b32_e32 v28, 3, v28
	v_cmp_eq_u32_e32 vcc, 0, v18
	v_cndmask_b32_e32 v0, v18, v0, vcc
	v_cndmask_b32_e32 v18, v27, v28, vcc
	v_lshlrev_b32_e32 v27, 8, v17
	v_and_b32_e32 v27, 0x80000000, v27
	v_lshl_add_u32 v0, v0, 23, v27
	v_lshl_or_b32 v0, v18, 21, v0
	v_add_u32_e32 v18, 0x38000000, v0
                                        ; implicit-def: $vgpr27
                                        ; implicit-def: $vgpr0
.LBB4_1216:                             ;   in Loop: Header=BB4_900 Depth=2
	s_andn2_saveexec_b64 s[74:75], s[74:75]
; %bb.1217:                             ;   in Loop: Header=BB4_900 Depth=2
	v_cmp_gt_i16_sdwa vcc, sext(v0), v7 src0_sel:BYTE_0 src1_sel:DWORD
	v_cndmask_b32_e32 v0, v8, v54, vcc
	v_cmp_eq_u32_e32 vcc, 0, v27
	v_cndmask_b32_e32 v18, v55, v0, vcc
; %bb.1218:                             ;   in Loop: Header=BB4_900 Depth=2
	s_or_b64 exec, exec, s[74:75]
.LBB4_1219:                             ;   in Loop: Header=BB4_900 Depth=2
	s_or_b64 exec, exec, s[72:73]
.LBB4_1220:                             ;   in Loop: Header=BB4_900 Depth=2
	s_or_b64 exec, exec, s[16:17]
	v_and_b32_sdwa v27, v2, s37 dst_sel:DWORD dst_unused:UNUSED_PAD src0_sel:WORD_1 src1_sel:DWORD
	v_lshrrev_b32_e32 v0, 16, v2
	v_cmp_ne_u16_e32 vcc, 0, v27
	s_and_saveexec_b64 s[16:17], vcc
	s_cbranch_execz .LBB4_1228
; %bb.1221:                             ;   in Loop: Header=BB4_900 Depth=2
	v_cmp_ne_u16_e32 vcc, s48, v27
	v_bfrev_b32_e32 v23, 1
	s_and_saveexec_b64 s[72:73], vcc
	s_cbranch_execz .LBB4_1227
; %bb.1222:                             ;   in Loop: Header=BB4_900 Depth=2
	v_and_b32_e32 v23, 0x7c0000, v2
	v_bfe_u32 v27, v2, 16, 2
	v_cmp_ne_u32_e32 vcc, s51, v23
                                        ; implicit-def: $vgpr23
	s_and_saveexec_b64 s[74:75], vcc
	s_xor_b64 s[74:75], exec, s[74:75]
	s_cbranch_execz .LBB4_1224
; %bb.1223:                             ;   in Loop: Header=BB4_900 Depth=2
	v_ffbh_u32_e32 v28, v27
	v_min_u32_e32 v36, 32, v28
	v_lshrrev_b32_e32 v0, 16, v2
	v_subrev_u32_e32 v28, 29, v36
	v_lshlrev_b64 v[28:29], v28, v[0:1]
	v_bfe_u32 v23, v2, 18, 5
	v_sub_u32_e32 v0, 30, v36
	v_and_b32_e32 v28, 3, v28
	v_cmp_eq_u32_e32 vcc, 0, v23
	v_cndmask_b32_e32 v0, v23, v0, vcc
	v_cndmask_b32_e32 v23, v27, v28, vcc
	v_lshlrev_b32_e32 v27, 8, v2
	v_and_b32_e32 v27, 0x80000000, v27
	v_lshl_add_u32 v0, v0, 23, v27
	v_lshl_or_b32 v0, v23, 21, v0
	v_add_u32_e32 v23, 0x38000000, v0
                                        ; implicit-def: $vgpr27
                                        ; implicit-def: $vgpr0
.LBB4_1224:                             ;   in Loop: Header=BB4_900 Depth=2
	s_andn2_saveexec_b64 s[74:75], s[74:75]
; %bb.1225:                             ;   in Loop: Header=BB4_900 Depth=2
	v_cmp_gt_i16_sdwa vcc, sext(v0), v7 src0_sel:BYTE_0 src1_sel:DWORD
	v_cndmask_b32_e32 v0, v8, v54, vcc
	v_cmp_eq_u32_e32 vcc, 0, v27
	v_cndmask_b32_e32 v23, v55, v0, vcc
; %bb.1226:                             ;   in Loop: Header=BB4_900 Depth=2
	s_or_b64 exec, exec, s[74:75]
.LBB4_1227:                             ;   in Loop: Header=BB4_900 Depth=2
	s_or_b64 exec, exec, s[72:73]
.LBB4_1228:                             ;   in Loop: Header=BB4_900 Depth=2
	s_or_b64 exec, exec, s[16:17]
	v_add_f32_e32 v18, v18, v23
	v_and_b32_e32 v28, 0x7f800000, v18
	v_mov_b32_e32 v29, v3
	v_cmp_ne_u64_e32 vcc, s[56:57], v[28:29]
	v_and_b32_e32 v27, 0x7fffff, v18
	v_mov_b32_e32 v28, v3
                                        ; implicit-def: $vgpr29
	s_and_saveexec_b64 s[16:17], vcc
	s_xor_b64 s[72:73], exec, s[16:17]
	s_cbranch_execz .LBB4_1242
; %bb.1229:                             ;   in Loop: Header=BB4_900 Depth=2
	v_and_b32_e32 v36, 0x7fffffff, v18
	v_mov_b32_e32 v37, v3
	v_cmp_gt_u64_e32 vcc, s[58:59], v[36:37]
	v_and_b32_sdwa v0, v18, s48 dst_sel:DWORD dst_unused:UNUSED_PAD src0_sel:BYTE_3 src1_sel:DWORD
                                        ; implicit-def: $vgpr29
	s_and_saveexec_b64 s[16:17], vcc
	s_xor_b64 s[74:75], exec, s[16:17]
	s_cbranch_execz .LBB4_1239
; %bb.1230:                             ;   in Loop: Header=BB4_900 Depth=2
	v_mov_b32_e32 v29, 0
	v_cmp_ne_u32_e32 vcc, 0, v18
	s_and_saveexec_b64 s[76:77], vcc
	s_cbranch_execz .LBB4_1238
; %bb.1231:                             ;   in Loop: Header=BB4_900 Depth=2
	v_bfe_u32 v18, v18, 23, 8
	v_cmp_gt_u32_e64 s[16:17], s49, v18
	v_sub_u32_e32 v23, 0x71, v18
	v_cmp_eq_u32_e32 vcc, 0, v18
	v_cndmask_b32_e64 v23, 0, v23, s[16:17]
	v_or_b32_e32 v29, 0x800000, v27
	v_cndmask_b32_e32 v23, v23, v12, vcc
	v_cndmask_b32_e32 v27, v29, v27, vcc
	v_add_u32_e32 v29, 21, v23
	v_lshlrev_b64 v[36:37], v29, -1
	v_add_u32_e32 v29, 20, v23
	v_bfi_b32 v36, v36, 0, v27
	v_lshlrev_b64 v[38:39], v29, 1
	v_lshrrev_b64 v[27:28], v23, v[27:28]
	v_bfi_b32 v37, v37, 0, 0
	v_cmp_eq_u64_e64 s[16:17], v[36:37], v[38:39]
	v_mov_b32_e32 v29, v28
	v_mov_b32_e32 v28, v27
	s_and_saveexec_b64 s[78:79], s[16:17]
; %bb.1232:                             ;   in Loop: Header=BB4_900 Depth=2
	v_bfe_u32 v28, v27, 21, 1
	v_add_co_u32_e64 v28, s[16:17], v27, v28
	v_add_co_u32_e64 v28, s[16:17], -1, v28
; %bb.1233:                             ;   in Loop: Header=BB4_900 Depth=2
	s_or_b64 exec, exec, s[78:79]
	v_add_u32_e32 v18, 0xffffff81, v18
	v_cndmask_b32_e32 v18, v18, v48, vcc
	v_lshrrev_b32_e32 v29, 23, v27
	v_add3_u32 v29, v23, v18, v29
	v_add_u32_e32 v23, 14, v29
	v_and_b32_e32 v18, 0x1fffff, v28
	v_add_u32_e32 v27, v18, v27
	v_mov_b32_e32 v28, v3
	v_cmp_ne_u32_e32 vcc, 0, v23
                                        ; implicit-def: $vgpr18
	s_and_saveexec_b64 s[16:17], vcc
	s_xor_b64 s[16:17], exec, s[16:17]
; %bb.1234:                             ;   in Loop: Header=BB4_900 Depth=2
	v_cmp_lt_u64_e32 vcc, s[60:61], v[27:28]
	v_add_u32_e32 v18, 15, v29
	v_cndmask_b32_e32 v18, v23, v18, vcc
	v_cndmask_b32_e64 v23, 0, 1, vcc
	v_lshrrev_b64 v[27:28], v23, v[27:28]
; %bb.1235:                             ;   in Loop: Header=BB4_900 Depth=2
	s_andn2_saveexec_b64 s[16:17], s[16:17]
; %bb.1236:                             ;   in Loop: Header=BB4_900 Depth=2
	v_bfe_u32 v18, v27, 23, 1
; %bb.1237:                             ;   in Loop: Header=BB4_900 Depth=2
	s_or_b64 exec, exec, s[16:17]
	v_lshrrev_b64 v[27:28], 21, v[27:28]
	v_cmp_gt_i32_e32 vcc, 32, v18
	v_cndmask_b32_e32 v28, 0, v28, vcc
	v_cndmask_b32_e32 v27, 3, v27, vcc
	v_cmp_eq_u32_e32 vcc, 0, v18
	v_min_i32_e32 v18, 31, v18
	v_cmp_eq_u64_e64 s[16:17], 0, v[27:28]
	v_lshlrev_b32_e32 v18, 2, v18
	v_and_b32_e32 v18, 0xfc, v18
	v_and_or_b32 v18, v27, 3, v18
	s_and_b64 s[16:17], vcc, s[16:17]
	v_cndmask_b32_e64 v18, v18, 0, s[16:17]
	v_or_b32_e32 v29, v18, v0
.LBB4_1238:                             ;   in Loop: Header=BB4_900 Depth=2
	s_or_b64 exec, exec, s[76:77]
                                        ; implicit-def: $vgpr0
.LBB4_1239:                             ;   in Loop: Header=BB4_900 Depth=2
	s_andn2_saveexec_b64 s[16:17], s[74:75]
; %bb.1240:                             ;   in Loop: Header=BB4_900 Depth=2
	v_or_b32_e32 v29, 0x7b, v0
; %bb.1241:                             ;   in Loop: Header=BB4_900 Depth=2
	s_or_b64 exec, exec, s[16:17]
                                        ; implicit-def: $vgpr18
                                        ; implicit-def: $vgpr27_vgpr28
.LBB4_1242:                             ;   in Loop: Header=BB4_900 Depth=2
	s_andn2_saveexec_b64 s[16:17], s[72:73]
	s_cbranch_execz .LBB4_1248
; %bb.1243:                             ;   in Loop: Header=BB4_900 Depth=2
	v_cmp_ne_u64_e32 vcc, 0, v[27:28]
                                        ; implicit-def: $vgpr29
	s_and_saveexec_b64 s[72:73], vcc
	s_xor_b64 s[72:73], exec, s[72:73]
; %bb.1244:                             ;   in Loop: Header=BB4_900 Depth=2
	v_or_b32_sdwa v29, v18, s50 dst_sel:DWORD dst_unused:UNUSED_PAD src0_sel:BYTE_3 src1_sel:DWORD
                                        ; implicit-def: $vgpr18
; %bb.1245:                             ;   in Loop: Header=BB4_900 Depth=2
	s_andn2_saveexec_b64 s[72:73], s[72:73]
; %bb.1246:                             ;   in Loop: Header=BB4_900 Depth=2
	v_cmp_lt_i32_e32 vcc, -1, v18
	v_cndmask_b32_e32 v29, v49, v11, vcc
; %bb.1247:                             ;   in Loop: Header=BB4_900 Depth=2
	s_or_b64 exec, exec, s[72:73]
.LBB4_1248:                             ;   in Loop: Header=BB4_900 Depth=2
	s_or_b64 exec, exec, s[16:17]
	v_cmp_lt_u32_e32 vcc, s47, v17
	v_mov_b32_e32 v18, 0
	v_mov_b32_e32 v23, 0
	s_and_saveexec_b64 s[16:17], vcc
	s_cbranch_execz .LBB4_1256
; %bb.1249:                             ;   in Loop: Header=BB4_900 Depth=2
	v_lshrrev_b32_e32 v0, 24, v17
	v_cmp_ne_u32_e32 vcc, s48, v0
	v_bfrev_b32_e32 v23, 1
	s_and_saveexec_b64 s[72:73], vcc
	s_cbranch_execz .LBB4_1255
; %bb.1250:                             ;   in Loop: Header=BB4_900 Depth=2
	v_and_b32_e32 v23, 0x7c000000, v17
	v_bfe_u32 v27, v17, 24, 2
	v_cmp_ne_u32_e32 vcc, s52, v23
                                        ; implicit-def: $vgpr23
	s_and_saveexec_b64 s[74:75], vcc
	s_xor_b64 s[74:75], exec, s[74:75]
	s_cbranch_execz .LBB4_1252
; %bb.1251:                             ;   in Loop: Header=BB4_900 Depth=2
	v_ffbh_u32_e32 v28, v27
	v_min_u32_e32 v28, 32, v28
	v_subrev_u32_e32 v36, 29, v28
	v_bfe_u32 v23, v17, 26, 5
	v_lshlrev_b64 v[36:37], v36, v[0:1]
	v_sub_u32_e32 v0, 30, v28
	v_cmp_eq_u32_e32 vcc, 0, v23
	v_and_b32_e32 v28, 3, v36
	v_cndmask_b32_e32 v0, v23, v0, vcc
	v_and_b32_e32 v17, 0x80000000, v17
	v_cndmask_b32_e32 v23, v27, v28, vcc
	v_lshl_add_u32 v0, v0, 23, v17
	v_lshl_or_b32 v0, v23, 21, v0
	v_add_u32_e32 v23, 0x38000000, v0
                                        ; implicit-def: $vgpr27
.LBB4_1252:                             ;   in Loop: Header=BB4_900 Depth=2
	s_andn2_saveexec_b64 s[74:75], s[74:75]
; %bb.1253:                             ;   in Loop: Header=BB4_900 Depth=2
	v_cmp_lt_i32_e32 vcc, -1, v17
	v_cndmask_b32_e32 v0, v8, v54, vcc
	v_cmp_eq_u32_e32 vcc, 0, v27
	v_cndmask_b32_e32 v23, v55, v0, vcc
; %bb.1254:                             ;   in Loop: Header=BB4_900 Depth=2
	s_or_b64 exec, exec, s[74:75]
.LBB4_1255:                             ;   in Loop: Header=BB4_900 Depth=2
	s_or_b64 exec, exec, s[72:73]
.LBB4_1256:                             ;   in Loop: Header=BB4_900 Depth=2
	s_or_b64 exec, exec, s[16:17]
	v_cmp_lt_u32_e32 vcc, s47, v2
	s_and_saveexec_b64 s[16:17], vcc
	s_cbranch_execz .LBB4_1264
; %bb.1257:                             ;   in Loop: Header=BB4_900 Depth=2
	v_lshrrev_b32_e32 v0, 24, v2
	v_cmp_ne_u32_e32 vcc, s48, v0
	v_bfrev_b32_e32 v18, 1
	s_and_saveexec_b64 s[72:73], vcc
	s_cbranch_execz .LBB4_1263
; %bb.1258:                             ;   in Loop: Header=BB4_900 Depth=2
	v_and_b32_e32 v18, 0x7c000000, v2
	v_bfe_u32 v17, v2, 24, 2
	v_cmp_ne_u32_e32 vcc, s52, v18
                                        ; implicit-def: $vgpr18
	s_and_saveexec_b64 s[74:75], vcc
	s_xor_b64 s[74:75], exec, s[74:75]
	s_cbranch_execz .LBB4_1260
; %bb.1259:                             ;   in Loop: Header=BB4_900 Depth=2
	v_ffbh_u32_e32 v27, v17
	v_min_u32_e32 v36, 32, v27
	v_subrev_u32_e32 v27, 29, v36
	v_bfe_u32 v18, v2, 26, 5
	v_lshlrev_b64 v[27:28], v27, v[0:1]
	v_sub_u32_e32 v0, 30, v36
	v_cmp_eq_u32_e32 vcc, 0, v18
	v_and_b32_e32 v27, 3, v27
	v_cndmask_b32_e32 v0, v18, v0, vcc
	v_and_b32_e32 v2, 0x80000000, v2
	v_cndmask_b32_e32 v17, v17, v27, vcc
	v_lshl_add_u32 v0, v0, 23, v2
	v_lshl_or_b32 v0, v17, 21, v0
	v_add_u32_e32 v18, 0x38000000, v0
                                        ; implicit-def: $vgpr17
.LBB4_1260:                             ;   in Loop: Header=BB4_900 Depth=2
	s_andn2_saveexec_b64 s[74:75], s[74:75]
; %bb.1261:                             ;   in Loop: Header=BB4_900 Depth=2
	v_cmp_lt_i32_e32 vcc, -1, v2
	v_cndmask_b32_e32 v0, v8, v54, vcc
	v_cmp_eq_u32_e32 vcc, 0, v17
	v_cndmask_b32_e32 v18, v55, v0, vcc
; %bb.1262:                             ;   in Loop: Header=BB4_900 Depth=2
	s_or_b64 exec, exec, s[74:75]
.LBB4_1263:                             ;   in Loop: Header=BB4_900 Depth=2
	s_or_b64 exec, exec, s[72:73]
.LBB4_1264:                             ;   in Loop: Header=BB4_900 Depth=2
	s_or_b64 exec, exec, s[16:17]
	v_add_f32_e32 v17, v23, v18
	v_and_b32_e32 v27, 0x7f800000, v17
	v_mov_b32_e32 v28, v3
	v_cmp_ne_u64_e32 vcc, s[56:57], v[27:28]
	v_and_b32_e32 v2, 0x7fffff, v17
                                        ; implicit-def: $vgpr23
	s_and_saveexec_b64 s[16:17], vcc
	s_xor_b64 s[72:73], exec, s[16:17]
	s_cbranch_execz .LBB4_1278
; %bb.1265:                             ;   in Loop: Header=BB4_900 Depth=2
	v_and_b32_e32 v27, 0x7fffffff, v17
	v_mov_b32_e32 v28, v3
	v_cmp_gt_u64_e32 vcc, s[58:59], v[27:28]
	v_and_b32_sdwa v0, v17, s48 dst_sel:DWORD dst_unused:UNUSED_PAD src0_sel:BYTE_3 src1_sel:DWORD
                                        ; implicit-def: $vgpr23
	s_and_saveexec_b64 s[16:17], vcc
	s_xor_b64 s[74:75], exec, s[16:17]
	s_cbranch_execz .LBB4_1275
; %bb.1266:                             ;   in Loop: Header=BB4_900 Depth=2
	v_mov_b32_e32 v23, 0
	v_cmp_ne_u32_e32 vcc, 0, v17
	s_and_saveexec_b64 s[76:77], vcc
	s_cbranch_execz .LBB4_1274
; %bb.1267:                             ;   in Loop: Header=BB4_900 Depth=2
	v_bfe_u32 v23, v17, 23, 8
	v_cmp_gt_u32_e64 s[16:17], s49, v23
	v_sub_u32_e32 v17, 0x71, v23
	v_cmp_eq_u32_e32 vcc, 0, v23
	v_cndmask_b32_e64 v17, 0, v17, s[16:17]
	v_cndmask_b32_e32 v36, v17, v12, vcc
	v_or_b32_e32 v18, 0x800000, v2
	v_add_u32_e32 v17, 21, v36
	v_cndmask_b32_e32 v2, v18, v2, vcc
	v_lshlrev_b64 v[17:18], v17, -1
	v_add_u32_e32 v27, 20, v36
	v_lshlrev_b64 v[27:28], v27, 1
	v_bfi_b32 v18, v18, 0, 0
	v_bfi_b32 v17, v17, 0, v2
	v_cmp_eq_u64_e64 s[16:17], v[17:18], v[27:28]
	v_lshrrev_b64 v[17:18], v36, v[2:3]
	v_mov_b32_e32 v28, v18
	v_mov_b32_e32 v27, v17
	s_and_saveexec_b64 s[78:79], s[16:17]
; %bb.1268:                             ;   in Loop: Header=BB4_900 Depth=2
	v_bfe_u32 v2, v17, 21, 1
	v_add_co_u32_e64 v2, s[16:17], v17, v2
	v_add_co_u32_e64 v27, s[16:17], -1, v2
; %bb.1269:                             ;   in Loop: Header=BB4_900 Depth=2
	s_or_b64 exec, exec, s[78:79]
	v_add_u32_e32 v2, 0xffffff81, v23
	v_cndmask_b32_e32 v2, v2, v48, vcc
	v_lshrrev_b32_e32 v18, 23, v17
	v_add3_u32 v36, v36, v2, v18
	v_add_u32_e32 v28, 14, v36
	v_and_b32_e32 v2, 0x1fffff, v27
	v_add_u32_e32 v2, v2, v17
	v_cmp_ne_u32_e32 vcc, 0, v28
                                        ; implicit-def: $vgpr17_vgpr18
                                        ; implicit-def: $vgpr23
	s_and_saveexec_b64 s[16:17], vcc
	s_xor_b64 s[16:17], exec, s[16:17]
; %bb.1270:                             ;   in Loop: Header=BB4_900 Depth=2
	v_cmp_lt_u64_e32 vcc, s[60:61], v[2:3]
	v_add_u32_e32 v17, 15, v36
	v_cndmask_b32_e32 v23, v28, v17, vcc
	v_cndmask_b32_e64 v17, 0, 1, vcc
	v_lshrrev_b64 v[17:18], v17, v[2:3]
; %bb.1271:                             ;   in Loop: Header=BB4_900 Depth=2
	s_andn2_saveexec_b64 s[16:17], s[16:17]
; %bb.1272:                             ;   in Loop: Header=BB4_900 Depth=2
	v_mov_b32_e32 v18, v3
	v_bfe_u32 v23, v2, 23, 1
	v_mov_b32_e32 v17, v2
; %bb.1273:                             ;   in Loop: Header=BB4_900 Depth=2
	s_or_b64 exec, exec, s[16:17]
	v_lshrrev_b64 v[17:18], 21, v[17:18]
	v_cmp_gt_i32_e32 vcc, 32, v23
	v_cndmask_b32_e32 v18, 0, v18, vcc
	v_cndmask_b32_e32 v17, 3, v17, vcc
	v_min_i32_e32 v2, 31, v23
	v_cmp_eq_u64_e64 s[16:17], 0, v[17:18]
	v_lshlrev_b32_e32 v2, 2, v2
	v_cmp_eq_u32_e32 vcc, 0, v23
	v_and_b32_e32 v2, 0xfc, v2
	v_and_or_b32 v2, v17, 3, v2
	s_and_b64 s[16:17], vcc, s[16:17]
	v_cndmask_b32_e64 v2, v2, 0, s[16:17]
	v_or_b32_e32 v23, v2, v0
.LBB4_1274:                             ;   in Loop: Header=BB4_900 Depth=2
	s_or_b64 exec, exec, s[76:77]
                                        ; implicit-def: $vgpr0
.LBB4_1275:                             ;   in Loop: Header=BB4_900 Depth=2
	s_andn2_saveexec_b64 s[16:17], s[74:75]
; %bb.1276:                             ;   in Loop: Header=BB4_900 Depth=2
	v_or_b32_e32 v23, 0x7b, v0
; %bb.1277:                             ;   in Loop: Header=BB4_900 Depth=2
	s_or_b64 exec, exec, s[16:17]
                                        ; implicit-def: $vgpr17
.LBB4_1278:                             ;   in Loop: Header=BB4_900 Depth=2
	s_andn2_saveexec_b64 s[16:17], s[72:73]
	s_cbranch_execz .LBB4_1284
; %bb.1279:                             ;   in Loop: Header=BB4_900 Depth=2
	v_cmp_ne_u64_e32 vcc, 0, v[2:3]
                                        ; implicit-def: $vgpr23
	s_and_saveexec_b64 s[72:73], vcc
	s_xor_b64 s[72:73], exec, s[72:73]
; %bb.1280:                             ;   in Loop: Header=BB4_900 Depth=2
	v_or_b32_sdwa v23, v17, s50 dst_sel:DWORD dst_unused:UNUSED_PAD src0_sel:BYTE_3 src1_sel:DWORD
                                        ; implicit-def: $vgpr17
; %bb.1281:                             ;   in Loop: Header=BB4_900 Depth=2
	s_andn2_saveexec_b64 s[72:73], s[72:73]
; %bb.1282:                             ;   in Loop: Header=BB4_900 Depth=2
	v_cmp_lt_i32_e32 vcc, -1, v17
	v_cndmask_b32_e32 v23, v49, v11, vcc
; %bb.1283:                             ;   in Loop: Header=BB4_900 Depth=2
	s_or_b64 exec, exec, s[72:73]
.LBB4_1284:                             ;   in Loop: Header=BB4_900 Depth=2
	s_or_b64 exec, exec, s[16:17]
	v_cmp_ne_u16_sdwa s[72:73], v19, v3 src0_sel:BYTE_0 src1_sel:DWORD
	v_mov_b32_e32 v18, 0
	v_mov_b32_e32 v17, 0
	s_and_saveexec_b64 s[16:17], s[72:73]
	s_cbranch_execz .LBB4_1292
; %bb.1285:                             ;   in Loop: Header=BB4_900 Depth=2
	v_cmp_ne_u16_sdwa s[74:75], sext(v19), s38 src0_sel:BYTE_0 src1_sel:DWORD
	v_bfrev_b32_e32 v17, 1
	s_and_saveexec_b64 s[72:73], s[74:75]
	s_cbranch_execz .LBB4_1291
; %bb.1286:                             ;   in Loop: Header=BB4_900 Depth=2
	v_and_b32_e32 v2, 0x7c, v19
	v_and_b32_e32 v0, 3, v19
	v_cmp_ne_u32_e32 vcc, s39, v2
                                        ; implicit-def: $vgpr17
	s_and_saveexec_b64 s[74:75], vcc
	s_xor_b64 s[74:75], exec, s[74:75]
	s_cbranch_execz .LBB4_1288
; %bb.1287:                             ;   in Loop: Header=BB4_900 Depth=2
	v_ffbh_u32_e32 v17, v0
	v_min_u32_e32 v17, 32, v17
	v_bfe_u32 v2, v19, 2, 5
	v_subrev_u32_e32 v27, 29, v17
	v_lshlrev_b64 v[27:28], v27, v[19:20]
	v_sub_u32_e32 v17, 30, v17
	v_cmp_eq_u32_e32 vcc, 0, v2
	v_cndmask_b32_e32 v2, v2, v17, vcc
	v_lshlrev_b32_e32 v17, 24, v19
	v_and_b32_e32 v20, 3, v27
	v_and_b32_e32 v17, 0x80000000, v17
	v_cndmask_b32_e32 v0, v0, v20, vcc
	v_lshl_add_u32 v2, v2, 23, v17
	v_lshl_or_b32 v0, v0, 21, v2
	v_add_u32_e32 v17, 0x38000000, v0
                                        ; implicit-def: $vgpr0
.LBB4_1288:                             ;   in Loop: Header=BB4_900 Depth=2
	s_andn2_saveexec_b64 s[74:75], s[74:75]
; %bb.1289:                             ;   in Loop: Header=BB4_900 Depth=2
	v_cmp_gt_i16_sdwa vcc, sext(v19), v7 src0_sel:BYTE_0 src1_sel:DWORD
	v_cndmask_b32_e32 v2, v8, v54, vcc
	v_cmp_eq_u32_e32 vcc, 0, v0
	v_cndmask_b32_e32 v17, v55, v2, vcc
; %bb.1290:                             ;   in Loop: Header=BB4_900 Depth=2
	s_or_b64 exec, exec, s[74:75]
.LBB4_1291:                             ;   in Loop: Header=BB4_900 Depth=2
	s_or_b64 exec, exec, s[72:73]
.LBB4_1292:                             ;   in Loop: Header=BB4_900 Depth=2
	s_or_b64 exec, exec, s[16:17]
	v_lshlrev_b32_e32 v2, 24, v24
	v_lshlrev_b32_e32 v20, 16, v33
	v_lshl_or_b32 v0, v32, 8, v30
	v_or3_b32 v2, v20, v2, v0
	v_cmp_ne_u32_e32 vcc, 0, v30
	s_and_saveexec_b64 s[72:73], vcc
	s_cbranch_execz .LBB4_1300
; %bb.1293:                             ;   in Loop: Header=BB4_900 Depth=2
	v_cmp_ne_u32_e32 vcc, s48, v30
	v_bfrev_b32_e32 v18, 1
	s_and_saveexec_b64 s[74:75], vcc
	s_cbranch_execz .LBB4_1299
; %bb.1294:                             ;   in Loop: Header=BB4_900 Depth=2
	v_and_b32_e32 v18, 0x7c, v30
	v_and_b32_e32 v20, 3, v30
	v_cmp_ne_u32_e32 vcc, s39, v18
                                        ; implicit-def: $vgpr18
	s_and_saveexec_b64 s[16:17], vcc
	s_xor_b64 s[16:17], exec, s[16:17]
	s_cbranch_execz .LBB4_1296
; %bb.1295:                             ;   in Loop: Header=BB4_900 Depth=2
	v_ffbh_u32_e32 v24, v20
	v_min_u32_e32 v24, 32, v24
	v_bfe_u32 v18, v30, 2, 5
	v_subrev_u32_e32 v27, 29, v24
	v_lshlrev_b64 v[27:28], v27, v[2:3]
	v_sub_u32_e32 v24, 30, v24
	v_cmp_eq_u32_e32 vcc, 0, v18
	v_cndmask_b32_e32 v18, v18, v24, vcc
	v_lshlrev_b32_e32 v24, 24, v30
	v_and_b32_e32 v27, 3, v27
	v_and_b32_e32 v24, 0x80000000, v24
	v_cndmask_b32_e32 v20, v20, v27, vcc
	v_lshl_add_u32 v18, v18, 23, v24
	v_lshl_or_b32 v18, v20, 21, v18
	v_add_u32_e32 v18, 0x38000000, v18
                                        ; implicit-def: $vgpr20
                                        ; implicit-def: $vgpr30
.LBB4_1296:                             ;   in Loop: Header=BB4_900 Depth=2
	s_andn2_saveexec_b64 s[76:77], s[16:17]
; %bb.1297:                             ;   in Loop: Header=BB4_900 Depth=2
	v_and_b32_e32 v18, 0x80, v30
	v_cmp_eq_u32_e64 s[16:17], 0, v18
	v_cmp_eq_u32_e32 vcc, 0, v20
	v_cndmask_b32_e64 v18, v8, v54, s[16:17]
	v_cndmask_b32_e32 v18, v55, v18, vcc
; %bb.1298:                             ;   in Loop: Header=BB4_900 Depth=2
	s_or_b64 exec, exec, s[76:77]
.LBB4_1299:                             ;   in Loop: Header=BB4_900 Depth=2
	s_or_b64 exec, exec, s[74:75]
.LBB4_1300:                             ;   in Loop: Header=BB4_900 Depth=2
	s_or_b64 exec, exec, s[72:73]
	v_add_f32_e32 v27, v17, v18
	v_and_b32_e32 v32, 0x7f800000, v27
	v_mov_b32_e32 v33, v3
	v_cmp_ne_u64_e32 vcc, s[56:57], v[32:33]
	v_and_b32_e32 v17, 0x7fffff, v27
	v_mov_b32_e32 v18, v3
                                        ; implicit-def: $vgpr20
	s_and_saveexec_b64 s[16:17], vcc
	s_xor_b64 s[72:73], exec, s[16:17]
	s_cbranch_execz .LBB4_1314
; %bb.1301:                             ;   in Loop: Header=BB4_900 Depth=2
	v_and_b32_e32 v32, 0x7fffffff, v27
	v_mov_b32_e32 v33, v3
	v_cmp_gt_u64_e32 vcc, s[58:59], v[32:33]
	v_and_b32_sdwa v24, v27, s48 dst_sel:DWORD dst_unused:UNUSED_PAD src0_sel:BYTE_3 src1_sel:DWORD
                                        ; implicit-def: $vgpr20
	s_and_saveexec_b64 s[16:17], vcc
	s_xor_b64 s[74:75], exec, s[16:17]
	s_cbranch_execz .LBB4_1311
; %bb.1302:                             ;   in Loop: Header=BB4_900 Depth=2
	v_mov_b32_e32 v20, 0
	v_cmp_ne_u32_e32 vcc, 0, v27
	s_and_saveexec_b64 s[76:77], vcc
	s_cbranch_execz .LBB4_1310
; %bb.1303:                             ;   in Loop: Header=BB4_900 Depth=2
	v_bfe_u32 v20, v27, 23, 8
	v_cmp_gt_u32_e64 s[16:17], s49, v20
	v_sub_u32_e32 v27, 0x71, v20
	v_cmp_eq_u32_e32 vcc, 0, v20
	v_cndmask_b32_e64 v27, 0, v27, s[16:17]
	v_cndmask_b32_e32 v30, v27, v12, vcc
	v_or_b32_e32 v28, 0x800000, v17
	v_add_u32_e32 v27, 21, v30
	v_cndmask_b32_e32 v17, v28, v17, vcc
	v_lshlrev_b64 v[27:28], v27, -1
	v_add_u32_e32 v32, 20, v30
	v_bfi_b32 v27, v27, 0, v17
	v_lshlrev_b64 v[32:33], v32, 1
	v_lshrrev_b64 v[17:18], v30, v[17:18]
	v_bfi_b32 v28, v28, 0, 0
	v_cmp_eq_u64_e64 s[16:17], v[27:28], v[32:33]
	v_mov_b32_e32 v28, v18
	v_mov_b32_e32 v27, v17
	s_and_saveexec_b64 s[78:79], s[16:17]
; %bb.1304:                             ;   in Loop: Header=BB4_900 Depth=2
	v_bfe_u32 v18, v17, 21, 1
	v_add_co_u32_e64 v18, s[16:17], v17, v18
	v_add_co_u32_e64 v27, s[16:17], -1, v18
; %bb.1305:                             ;   in Loop: Header=BB4_900 Depth=2
	s_or_b64 exec, exec, s[78:79]
	v_add_u32_e32 v18, 0xffffff81, v20
	v_cndmask_b32_e32 v18, v18, v48, vcc
	v_lshrrev_b32_e32 v20, 23, v17
	v_add3_u32 v30, v30, v18, v20
	v_add_u32_e32 v28, 14, v30
	v_and_b32_e32 v18, 0x1fffff, v27
	v_add_u32_e32 v17, v18, v17
	v_mov_b32_e32 v18, v3
	v_cmp_ne_u32_e32 vcc, 0, v28
                                        ; implicit-def: $vgpr20
	s_and_saveexec_b64 s[16:17], vcc
	s_xor_b64 s[16:17], exec, s[16:17]
; %bb.1306:                             ;   in Loop: Header=BB4_900 Depth=2
	v_cmp_lt_u64_e32 vcc, s[60:61], v[17:18]
	v_add_u32_e32 v20, 15, v30
	v_cndmask_b32_e64 v27, 0, 1, vcc
	v_cndmask_b32_e32 v20, v28, v20, vcc
	v_lshrrev_b64 v[17:18], v27, v[17:18]
; %bb.1307:                             ;   in Loop: Header=BB4_900 Depth=2
	s_andn2_saveexec_b64 s[16:17], s[16:17]
; %bb.1308:                             ;   in Loop: Header=BB4_900 Depth=2
	v_bfe_u32 v20, v17, 23, 1
; %bb.1309:                             ;   in Loop: Header=BB4_900 Depth=2
	s_or_b64 exec, exec, s[16:17]
	v_lshrrev_b64 v[17:18], 21, v[17:18]
	v_cmp_gt_i32_e32 vcc, 32, v20
	v_cndmask_b32_e32 v18, 0, v18, vcc
	v_cndmask_b32_e32 v17, 3, v17, vcc
	v_cmp_eq_u64_e64 s[16:17], 0, v[17:18]
	v_min_i32_e32 v18, 31, v20
	v_lshlrev_b32_e32 v18, 2, v18
	v_cmp_eq_u32_e32 vcc, 0, v20
	v_and_b32_e32 v18, 0xfc, v18
	v_and_or_b32 v17, v17, 3, v18
	s_and_b64 s[16:17], vcc, s[16:17]
	v_cndmask_b32_e64 v17, v17, 0, s[16:17]
	v_or_b32_e32 v20, v17, v24
.LBB4_1310:                             ;   in Loop: Header=BB4_900 Depth=2
	s_or_b64 exec, exec, s[76:77]
                                        ; implicit-def: $vgpr24
.LBB4_1311:                             ;   in Loop: Header=BB4_900 Depth=2
	s_andn2_saveexec_b64 s[16:17], s[74:75]
; %bb.1312:                             ;   in Loop: Header=BB4_900 Depth=2
	v_or_b32_e32 v20, 0x7b, v24
; %bb.1313:                             ;   in Loop: Header=BB4_900 Depth=2
	s_or_b64 exec, exec, s[16:17]
                                        ; implicit-def: $vgpr27
                                        ; implicit-def: $vgpr17_vgpr18
.LBB4_1314:                             ;   in Loop: Header=BB4_900 Depth=2
	s_andn2_saveexec_b64 s[16:17], s[72:73]
	s_cbranch_execz .LBB4_1320
; %bb.1315:                             ;   in Loop: Header=BB4_900 Depth=2
	v_cmp_ne_u64_e32 vcc, 0, v[17:18]
                                        ; implicit-def: $vgpr20
	s_and_saveexec_b64 s[72:73], vcc
	s_xor_b64 s[72:73], exec, s[72:73]
; %bb.1316:                             ;   in Loop: Header=BB4_900 Depth=2
	v_or_b32_sdwa v20, v27, s50 dst_sel:DWORD dst_unused:UNUSED_PAD src0_sel:BYTE_3 src1_sel:DWORD
                                        ; implicit-def: $vgpr27
; %bb.1317:                             ;   in Loop: Header=BB4_900 Depth=2
	s_andn2_saveexec_b64 s[72:73], s[72:73]
; %bb.1318:                             ;   in Loop: Header=BB4_900 Depth=2
	v_cmp_lt_i32_e32 vcc, -1, v27
	v_cndmask_b32_e32 v20, v49, v11, vcc
; %bb.1319:                             ;   in Loop: Header=BB4_900 Depth=2
	s_or_b64 exec, exec, s[72:73]
.LBB4_1320:                             ;   in Loop: Header=BB4_900 Depth=2
	s_or_b64 exec, exec, s[16:17]
	v_lshrrev_b16_e32 v17, 8, v19
	v_cmp_ne_u16_e32 vcc, 0, v17
	v_mov_b32_e32 v24, 0
	v_mov_b32_e32 v27, 0
	s_and_saveexec_b64 s[16:17], vcc
	s_cbranch_execz .LBB4_1328
; %bb.1321:                             ;   in Loop: Header=BB4_900 Depth=2
	v_cmp_ne_u16_e32 vcc, s48, v17
	v_bfrev_b32_e32 v27, 1
	s_and_saveexec_b64 s[72:73], vcc
	s_cbranch_execz .LBB4_1327
; %bb.1322:                             ;   in Loop: Header=BB4_900 Depth=2
	v_and_b32_e32 v18, 0x7c, v17
	v_and_b32_e32 v28, 3, v17
	v_cmp_ne_u32_e32 vcc, s39, v18
                                        ; implicit-def: $vgpr27
	s_and_saveexec_b64 s[74:75], vcc
	s_xor_b64 s[74:75], exec, s[74:75]
	s_cbranch_execz .LBB4_1324
; %bb.1323:                             ;   in Loop: Header=BB4_900 Depth=2
	v_ffbh_u32_e32 v30, v28
	v_min_u32_e32 v30, 32, v30
	v_mov_b32_e32 v18, v3
	v_subrev_u32_e32 v32, 29, v30
	v_bfe_u32 v27, v17, 2, 5
	v_lshlrev_b64 v[17:18], v32, v[17:18]
	v_sub_u32_e32 v18, 30, v30
	v_cmp_eq_u32_e32 vcc, 0, v27
	v_cndmask_b32_e32 v18, v27, v18, vcc
	v_lshlrev_b32_e32 v27, 16, v19
	v_and_b32_e32 v17, 3, v17
	v_and_b32_e32 v27, 0x80000000, v27
	v_cndmask_b32_e32 v17, v28, v17, vcc
	v_lshl_add_u32 v18, v18, 23, v27
	v_lshl_or_b32 v17, v17, 21, v18
	v_add_u32_e32 v27, 0x38000000, v17
                                        ; implicit-def: $vgpr28
.LBB4_1324:                             ;   in Loop: Header=BB4_900 Depth=2
	s_andn2_saveexec_b64 s[74:75], s[74:75]
; %bb.1325:                             ;   in Loop: Header=BB4_900 Depth=2
	v_cmp_lt_i16_e32 vcc, -1, v19
	v_cndmask_b32_e32 v17, v8, v54, vcc
	v_cmp_eq_u32_e32 vcc, 0, v28
	v_cndmask_b32_e32 v27, v55, v17, vcc
; %bb.1326:                             ;   in Loop: Header=BB4_900 Depth=2
	s_or_b64 exec, exec, s[74:75]
.LBB4_1327:                             ;   in Loop: Header=BB4_900 Depth=2
	s_or_b64 exec, exec, s[72:73]
.LBB4_1328:                             ;   in Loop: Header=BB4_900 Depth=2
	s_or_b64 exec, exec, s[16:17]
	v_lshrrev_b16_e32 v17, 8, v0
	v_cmp_ne_u16_e32 vcc, 0, v17
	s_and_saveexec_b64 s[16:17], vcc
	s_cbranch_execz .LBB4_1336
; %bb.1329:                             ;   in Loop: Header=BB4_900 Depth=2
	v_cmp_ne_u16_e32 vcc, s48, v17
	v_bfrev_b32_e32 v24, 1
	s_and_saveexec_b64 s[72:73], vcc
	s_cbranch_execz .LBB4_1335
; %bb.1330:                             ;   in Loop: Header=BB4_900 Depth=2
	v_and_b32_e32 v18, 0x7c, v17
	v_and_b32_e32 v28, 3, v17
	v_cmp_ne_u32_e32 vcc, s39, v18
                                        ; implicit-def: $vgpr24
	s_and_saveexec_b64 s[74:75], vcc
	s_xor_b64 s[74:75], exec, s[74:75]
	s_cbranch_execz .LBB4_1332
; %bb.1331:                             ;   in Loop: Header=BB4_900 Depth=2
	v_ffbh_u32_e32 v30, v28
	v_min_u32_e32 v30, 32, v30
	v_mov_b32_e32 v18, v3
	v_subrev_u32_e32 v32, 29, v30
	v_bfe_u32 v24, v17, 2, 5
	v_lshlrev_b64 v[17:18], v32, v[17:18]
	v_sub_u32_e32 v18, 30, v30
	v_cmp_eq_u32_e32 vcc, 0, v24
	v_lshlrev_b32_e32 v0, 16, v0
	v_and_b32_e32 v17, 3, v17
	v_cndmask_b32_e32 v18, v24, v18, vcc
	v_and_b32_e32 v0, 0x80000000, v0
	v_cndmask_b32_e32 v17, v28, v17, vcc
	v_lshl_add_u32 v0, v18, 23, v0
	v_lshl_or_b32 v0, v17, 21, v0
	v_add_u32_e32 v24, 0x38000000, v0
                                        ; implicit-def: $vgpr28
                                        ; implicit-def: $vgpr0
.LBB4_1332:                             ;   in Loop: Header=BB4_900 Depth=2
	s_andn2_saveexec_b64 s[74:75], s[74:75]
; %bb.1333:                             ;   in Loop: Header=BB4_900 Depth=2
	v_cmp_lt_i16_e32 vcc, -1, v0
	v_cndmask_b32_e32 v0, v8, v54, vcc
	v_cmp_eq_u32_e32 vcc, 0, v28
	v_cndmask_b32_e32 v24, v55, v0, vcc
; %bb.1334:                             ;   in Loop: Header=BB4_900 Depth=2
	s_or_b64 exec, exec, s[74:75]
.LBB4_1335:                             ;   in Loop: Header=BB4_900 Depth=2
	s_or_b64 exec, exec, s[72:73]
.LBB4_1336:                             ;   in Loop: Header=BB4_900 Depth=2
	s_or_b64 exec, exec, s[16:17]
	v_add_f32_e32 v27, v27, v24
	v_and_b32_e32 v32, 0x7f800000, v27
	v_mov_b32_e32 v33, v3
	v_cmp_ne_u64_e32 vcc, s[56:57], v[32:33]
	v_and_b32_e32 v17, 0x7fffff, v27
	v_mov_b32_e32 v18, v3
                                        ; implicit-def: $vgpr24
	s_and_saveexec_b64 s[16:17], vcc
	s_xor_b64 s[72:73], exec, s[16:17]
	s_cbranch_execz .LBB4_1350
; %bb.1337:                             ;   in Loop: Header=BB4_900 Depth=2
	v_and_b32_e32 v32, 0x7fffffff, v27
	v_mov_b32_e32 v33, v3
	v_cmp_gt_u64_e32 vcc, s[58:59], v[32:33]
	v_and_b32_sdwa v0, v27, s48 dst_sel:DWORD dst_unused:UNUSED_PAD src0_sel:BYTE_3 src1_sel:DWORD
                                        ; implicit-def: $vgpr24
	s_and_saveexec_b64 s[16:17], vcc
	s_xor_b64 s[74:75], exec, s[16:17]
	s_cbranch_execz .LBB4_1347
; %bb.1338:                             ;   in Loop: Header=BB4_900 Depth=2
	v_mov_b32_e32 v24, 0
	v_cmp_ne_u32_e32 vcc, 0, v27
	s_and_saveexec_b64 s[76:77], vcc
	s_cbranch_execz .LBB4_1346
; %bb.1339:                             ;   in Loop: Header=BB4_900 Depth=2
	v_bfe_u32 v24, v27, 23, 8
	v_cmp_gt_u32_e64 s[16:17], s49, v24
	v_sub_u32_e32 v27, 0x71, v24
	v_cmp_eq_u32_e32 vcc, 0, v24
	v_cndmask_b32_e64 v27, 0, v27, s[16:17]
	v_cndmask_b32_e32 v30, v27, v12, vcc
	v_or_b32_e32 v28, 0x800000, v17
	v_add_u32_e32 v27, 21, v30
	v_cndmask_b32_e32 v17, v28, v17, vcc
	v_lshlrev_b64 v[27:28], v27, -1
	v_add_u32_e32 v32, 20, v30
	v_bfi_b32 v27, v27, 0, v17
	v_lshlrev_b64 v[32:33], v32, 1
	v_lshrrev_b64 v[17:18], v30, v[17:18]
	v_bfi_b32 v28, v28, 0, 0
	v_cmp_eq_u64_e64 s[16:17], v[27:28], v[32:33]
	v_mov_b32_e32 v28, v18
	v_mov_b32_e32 v27, v17
	s_and_saveexec_b64 s[78:79], s[16:17]
; %bb.1340:                             ;   in Loop: Header=BB4_900 Depth=2
	v_bfe_u32 v18, v17, 21, 1
	v_add_co_u32_e64 v18, s[16:17], v17, v18
	v_add_co_u32_e64 v27, s[16:17], -1, v18
; %bb.1341:                             ;   in Loop: Header=BB4_900 Depth=2
	s_or_b64 exec, exec, s[78:79]
	v_add_u32_e32 v18, 0xffffff81, v24
	v_cndmask_b32_e32 v18, v18, v48, vcc
	v_lshrrev_b32_e32 v24, 23, v17
	v_add3_u32 v30, v30, v18, v24
	v_add_u32_e32 v28, 14, v30
	v_and_b32_e32 v18, 0x1fffff, v27
	v_add_u32_e32 v17, v18, v17
	v_mov_b32_e32 v18, v3
	v_cmp_ne_u32_e32 vcc, 0, v28
                                        ; implicit-def: $vgpr24
	s_and_saveexec_b64 s[16:17], vcc
	s_xor_b64 s[16:17], exec, s[16:17]
; %bb.1342:                             ;   in Loop: Header=BB4_900 Depth=2
	v_cmp_lt_u64_e32 vcc, s[60:61], v[17:18]
	v_add_u32_e32 v24, 15, v30
	v_cndmask_b32_e64 v27, 0, 1, vcc
	v_cndmask_b32_e32 v24, v28, v24, vcc
	v_lshrrev_b64 v[17:18], v27, v[17:18]
; %bb.1343:                             ;   in Loop: Header=BB4_900 Depth=2
	s_andn2_saveexec_b64 s[16:17], s[16:17]
; %bb.1344:                             ;   in Loop: Header=BB4_900 Depth=2
	v_bfe_u32 v24, v17, 23, 1
; %bb.1345:                             ;   in Loop: Header=BB4_900 Depth=2
	s_or_b64 exec, exec, s[16:17]
	v_lshrrev_b64 v[17:18], 21, v[17:18]
	v_cmp_gt_i32_e32 vcc, 32, v24
	v_cndmask_b32_e32 v18, 0, v18, vcc
	v_cndmask_b32_e32 v17, 3, v17, vcc
	v_cmp_eq_u64_e64 s[16:17], 0, v[17:18]
	v_min_i32_e32 v18, 31, v24
	v_lshlrev_b32_e32 v18, 2, v18
	v_cmp_eq_u32_e32 vcc, 0, v24
	v_and_b32_e32 v18, 0xfc, v18
	v_and_or_b32 v17, v17, 3, v18
	s_and_b64 s[16:17], vcc, s[16:17]
	v_cndmask_b32_e64 v17, v17, 0, s[16:17]
	v_or_b32_e32 v24, v17, v0
.LBB4_1346:                             ;   in Loop: Header=BB4_900 Depth=2
	s_or_b64 exec, exec, s[76:77]
                                        ; implicit-def: $vgpr0
.LBB4_1347:                             ;   in Loop: Header=BB4_900 Depth=2
	s_andn2_saveexec_b64 s[16:17], s[74:75]
; %bb.1348:                             ;   in Loop: Header=BB4_900 Depth=2
	v_or_b32_e32 v24, 0x7b, v0
; %bb.1349:                             ;   in Loop: Header=BB4_900 Depth=2
	s_or_b64 exec, exec, s[16:17]
                                        ; implicit-def: $vgpr27
                                        ; implicit-def: $vgpr17_vgpr18
.LBB4_1350:                             ;   in Loop: Header=BB4_900 Depth=2
	s_andn2_saveexec_b64 s[16:17], s[72:73]
	s_cbranch_execz .LBB4_1356
; %bb.1351:                             ;   in Loop: Header=BB4_900 Depth=2
	v_cmp_ne_u64_e32 vcc, 0, v[17:18]
                                        ; implicit-def: $vgpr24
	s_and_saveexec_b64 s[72:73], vcc
	s_xor_b64 s[72:73], exec, s[72:73]
; %bb.1352:                             ;   in Loop: Header=BB4_900 Depth=2
	v_or_b32_sdwa v24, v27, s50 dst_sel:DWORD dst_unused:UNUSED_PAD src0_sel:BYTE_3 src1_sel:DWORD
                                        ; implicit-def: $vgpr27
; %bb.1353:                             ;   in Loop: Header=BB4_900 Depth=2
	s_andn2_saveexec_b64 s[72:73], s[72:73]
; %bb.1354:                             ;   in Loop: Header=BB4_900 Depth=2
	v_cmp_lt_i32_e32 vcc, -1, v27
	v_cndmask_b32_e32 v24, v49, v11, vcc
; %bb.1355:                             ;   in Loop: Header=BB4_900 Depth=2
	s_or_b64 exec, exec, s[72:73]
.LBB4_1356:                             ;   in Loop: Header=BB4_900 Depth=2
	s_or_b64 exec, exec, s[16:17]
	v_lshrrev_b32_e32 v0, 16, v19
	v_cmp_ne_u16_sdwa s[72:73], v0, v3 src0_sel:BYTE_0 src1_sel:DWORD
	v_mov_b32_e32 v17, 0
	v_mov_b32_e32 v18, 0
	s_and_saveexec_b64 s[16:17], s[72:73]
	s_cbranch_execz .LBB4_1364
; %bb.1357:                             ;   in Loop: Header=BB4_900 Depth=2
	v_cmp_ne_u16_sdwa s[74:75], v0, s48 src0_sel:BYTE_0 src1_sel:DWORD
	v_bfrev_b32_e32 v18, 1
	s_and_saveexec_b64 s[72:73], s[74:75]
	s_cbranch_execz .LBB4_1363
; %bb.1358:                             ;   in Loop: Header=BB4_900 Depth=2
	v_and_b32_e32 v18, 0x7c0000, v19
	v_bfe_u32 v27, v19, 16, 2
	v_cmp_ne_u32_e32 vcc, s51, v18
                                        ; implicit-def: $vgpr18
	s_and_saveexec_b64 s[74:75], vcc
	s_xor_b64 s[74:75], exec, s[74:75]
	s_cbranch_execz .LBB4_1360
; %bb.1359:                             ;   in Loop: Header=BB4_900 Depth=2
	v_ffbh_u32_e32 v28, v27
	v_min_u32_e32 v28, 32, v28
	v_subrev_u32_e32 v30, 29, v28
	v_lshlrev_b64 v[32:33], v30, v[0:1]
	v_bfe_u32 v18, v19, 18, 5
	v_sub_u32_e32 v0, 30, v28
	v_and_b32_e32 v28, 3, v32
	v_cmp_eq_u32_e32 vcc, 0, v18
	v_cndmask_b32_e32 v0, v18, v0, vcc
	v_cndmask_b32_e32 v18, v27, v28, vcc
	v_lshlrev_b32_e32 v27, 8, v19
	v_and_b32_e32 v27, 0x80000000, v27
	v_lshl_add_u32 v0, v0, 23, v27
	v_lshl_or_b32 v0, v18, 21, v0
	v_add_u32_e32 v18, 0x38000000, v0
                                        ; implicit-def: $vgpr27
                                        ; implicit-def: $vgpr0
.LBB4_1360:                             ;   in Loop: Header=BB4_900 Depth=2
	s_andn2_saveexec_b64 s[74:75], s[74:75]
; %bb.1361:                             ;   in Loop: Header=BB4_900 Depth=2
	v_cmp_gt_i16_sdwa vcc, sext(v0), v7 src0_sel:BYTE_0 src1_sel:DWORD
	v_cndmask_b32_e32 v0, v8, v54, vcc
	v_cmp_eq_u32_e32 vcc, 0, v27
	v_cndmask_b32_e32 v18, v55, v0, vcc
; %bb.1362:                             ;   in Loop: Header=BB4_900 Depth=2
	s_or_b64 exec, exec, s[74:75]
.LBB4_1363:                             ;   in Loop: Header=BB4_900 Depth=2
	s_or_b64 exec, exec, s[72:73]
.LBB4_1364:                             ;   in Loop: Header=BB4_900 Depth=2
	s_or_b64 exec, exec, s[16:17]
	v_and_b32_sdwa v27, v2, s37 dst_sel:DWORD dst_unused:UNUSED_PAD src0_sel:WORD_1 src1_sel:DWORD
	v_lshrrev_b32_e32 v0, 16, v2
	v_cmp_ne_u16_e32 vcc, 0, v27
	s_and_saveexec_b64 s[16:17], vcc
	s_cbranch_execz .LBB4_1372
; %bb.1365:                             ;   in Loop: Header=BB4_900 Depth=2
	v_cmp_ne_u16_e32 vcc, s48, v27
	v_bfrev_b32_e32 v17, 1
	s_and_saveexec_b64 s[72:73], vcc
	s_cbranch_execz .LBB4_1371
; %bb.1366:                             ;   in Loop: Header=BB4_900 Depth=2
	v_and_b32_e32 v17, 0x7c0000, v2
	v_bfe_u32 v27, v2, 16, 2
	v_cmp_ne_u32_e32 vcc, s51, v17
                                        ; implicit-def: $vgpr17
	s_and_saveexec_b64 s[74:75], vcc
	s_xor_b64 s[74:75], exec, s[74:75]
	s_cbranch_execz .LBB4_1368
; %bb.1367:                             ;   in Loop: Header=BB4_900 Depth=2
	v_ffbh_u32_e32 v28, v27
	v_min_u32_e32 v28, 32, v28
	v_subrev_u32_e32 v30, 29, v28
	v_lshlrev_b64 v[32:33], v30, v[0:1]
	v_bfe_u32 v17, v2, 18, 5
	v_sub_u32_e32 v0, 30, v28
	v_and_b32_e32 v28, 3, v32
	v_cmp_eq_u32_e32 vcc, 0, v17
	v_cndmask_b32_e32 v0, v17, v0, vcc
	v_cndmask_b32_e32 v17, v27, v28, vcc
	v_lshlrev_b32_e32 v27, 8, v2
	v_and_b32_e32 v27, 0x80000000, v27
	v_lshl_add_u32 v0, v0, 23, v27
	v_lshl_or_b32 v0, v17, 21, v0
	v_add_u32_e32 v17, 0x38000000, v0
                                        ; implicit-def: $vgpr27
                                        ; implicit-def: $vgpr0
.LBB4_1368:                             ;   in Loop: Header=BB4_900 Depth=2
	s_andn2_saveexec_b64 s[74:75], s[74:75]
; %bb.1369:                             ;   in Loop: Header=BB4_900 Depth=2
	v_cmp_gt_i16_sdwa vcc, sext(v0), v7 src0_sel:BYTE_0 src1_sel:DWORD
	v_cndmask_b32_e32 v0, v8, v54, vcc
	v_cmp_eq_u32_e32 vcc, 0, v27
	v_cndmask_b32_e32 v17, v55, v0, vcc
; %bb.1370:                             ;   in Loop: Header=BB4_900 Depth=2
	s_or_b64 exec, exec, s[74:75]
.LBB4_1371:                             ;   in Loop: Header=BB4_900 Depth=2
	s_or_b64 exec, exec, s[72:73]
.LBB4_1372:                             ;   in Loop: Header=BB4_900 Depth=2
	s_or_b64 exec, exec, s[16:17]
	v_add_f32_e32 v28, v18, v17
	v_and_b32_e32 v32, 0x7f800000, v28
	v_mov_b32_e32 v33, v3
	v_cmp_ne_u64_e32 vcc, s[56:57], v[32:33]
	v_and_b32_e32 v17, 0x7fffff, v28
	v_mov_b32_e32 v18, v3
                                        ; implicit-def: $vgpr27
	s_and_saveexec_b64 s[16:17], vcc
	s_xor_b64 s[72:73], exec, s[16:17]
	s_cbranch_execz .LBB4_1386
; %bb.1373:                             ;   in Loop: Header=BB4_900 Depth=2
	v_and_b32_e32 v32, 0x7fffffff, v28
	v_mov_b32_e32 v33, v3
	v_cmp_gt_u64_e32 vcc, s[58:59], v[32:33]
	v_and_b32_sdwa v0, v28, s48 dst_sel:DWORD dst_unused:UNUSED_PAD src0_sel:BYTE_3 src1_sel:DWORD
                                        ; implicit-def: $vgpr27
	s_and_saveexec_b64 s[16:17], vcc
	s_xor_b64 s[74:75], exec, s[16:17]
	s_cbranch_execz .LBB4_1383
; %bb.1374:                             ;   in Loop: Header=BB4_900 Depth=2
	v_mov_b32_e32 v27, 0
	v_cmp_ne_u32_e32 vcc, 0, v28
	s_and_saveexec_b64 s[76:77], vcc
	s_cbranch_execz .LBB4_1382
; %bb.1375:                             ;   in Loop: Header=BB4_900 Depth=2
	v_bfe_u32 v30, v28, 23, 8
	v_cmp_gt_u32_e64 s[16:17], s49, v30
	v_sub_u32_e32 v27, 0x71, v30
	v_cmp_eq_u32_e32 vcc, 0, v30
	v_cndmask_b32_e64 v27, 0, v27, s[16:17]
	v_cndmask_b32_e32 v32, v27, v12, vcc
	v_or_b32_e32 v28, 0x800000, v17
	v_add_u32_e32 v27, 21, v32
	v_cndmask_b32_e32 v17, v28, v17, vcc
	v_lshlrev_b64 v[27:28], v27, -1
	v_add_u32_e32 v33, 20, v32
	v_bfi_b32 v27, v27, 0, v17
	v_lshlrev_b64 v[36:37], v33, 1
	v_lshrrev_b64 v[17:18], v32, v[17:18]
	v_bfi_b32 v28, v28, 0, 0
	v_cmp_eq_u64_e64 s[16:17], v[27:28], v[36:37]
	v_mov_b32_e32 v28, v18
	v_mov_b32_e32 v27, v17
	s_and_saveexec_b64 s[78:79], s[16:17]
; %bb.1376:                             ;   in Loop: Header=BB4_900 Depth=2
	v_bfe_u32 v18, v17, 21, 1
	v_add_co_u32_e64 v18, s[16:17], v17, v18
	v_add_co_u32_e64 v27, s[16:17], -1, v18
; %bb.1377:                             ;   in Loop: Header=BB4_900 Depth=2
	s_or_b64 exec, exec, s[78:79]
	v_add_u32_e32 v18, 0xffffff81, v30
	v_cndmask_b32_e32 v18, v18, v48, vcc
	v_lshrrev_b32_e32 v28, 23, v17
	v_add3_u32 v30, v32, v18, v28
	v_add_u32_e32 v28, 14, v30
	v_and_b32_e32 v18, 0x1fffff, v27
	v_add_u32_e32 v17, v18, v17
	v_mov_b32_e32 v18, v3
	v_cmp_ne_u32_e32 vcc, 0, v28
                                        ; implicit-def: $vgpr27
	s_and_saveexec_b64 s[16:17], vcc
	s_xor_b64 s[16:17], exec, s[16:17]
; %bb.1378:                             ;   in Loop: Header=BB4_900 Depth=2
	v_cmp_lt_u64_e32 vcc, s[60:61], v[17:18]
	v_add_u32_e32 v27, 15, v30
	v_cndmask_b32_e32 v27, v28, v27, vcc
	v_cndmask_b32_e64 v28, 0, 1, vcc
	v_lshrrev_b64 v[17:18], v28, v[17:18]
; %bb.1379:                             ;   in Loop: Header=BB4_900 Depth=2
	s_andn2_saveexec_b64 s[16:17], s[16:17]
; %bb.1380:                             ;   in Loop: Header=BB4_900 Depth=2
	v_bfe_u32 v27, v17, 23, 1
; %bb.1381:                             ;   in Loop: Header=BB4_900 Depth=2
	s_or_b64 exec, exec, s[16:17]
	v_lshrrev_b64 v[17:18], 21, v[17:18]
	v_cmp_gt_i32_e32 vcc, 32, v27
	v_cndmask_b32_e32 v18, 0, v18, vcc
	v_cndmask_b32_e32 v17, 3, v17, vcc
	v_cmp_eq_u64_e64 s[16:17], 0, v[17:18]
	v_min_i32_e32 v18, 31, v27
	v_lshlrev_b32_e32 v18, 2, v18
	v_cmp_eq_u32_e32 vcc, 0, v27
	v_and_b32_e32 v18, 0xfc, v18
	v_and_or_b32 v17, v17, 3, v18
	s_and_b64 s[16:17], vcc, s[16:17]
	v_cndmask_b32_e64 v17, v17, 0, s[16:17]
	v_or_b32_e32 v27, v17, v0
.LBB4_1382:                             ;   in Loop: Header=BB4_900 Depth=2
	s_or_b64 exec, exec, s[76:77]
                                        ; implicit-def: $vgpr0
.LBB4_1383:                             ;   in Loop: Header=BB4_900 Depth=2
	s_andn2_saveexec_b64 s[16:17], s[74:75]
; %bb.1384:                             ;   in Loop: Header=BB4_900 Depth=2
	v_or_b32_e32 v27, 0x7b, v0
; %bb.1385:                             ;   in Loop: Header=BB4_900 Depth=2
	s_or_b64 exec, exec, s[16:17]
                                        ; implicit-def: $vgpr28
                                        ; implicit-def: $vgpr17_vgpr18
.LBB4_1386:                             ;   in Loop: Header=BB4_900 Depth=2
	s_andn2_saveexec_b64 s[16:17], s[72:73]
	s_cbranch_execz .LBB4_1392
; %bb.1387:                             ;   in Loop: Header=BB4_900 Depth=2
	v_cmp_ne_u64_e32 vcc, 0, v[17:18]
                                        ; implicit-def: $vgpr27
	s_and_saveexec_b64 s[72:73], vcc
	s_xor_b64 s[72:73], exec, s[72:73]
; %bb.1388:                             ;   in Loop: Header=BB4_900 Depth=2
	v_or_b32_sdwa v27, v28, s50 dst_sel:DWORD dst_unused:UNUSED_PAD src0_sel:BYTE_3 src1_sel:DWORD
                                        ; implicit-def: $vgpr28
; %bb.1389:                             ;   in Loop: Header=BB4_900 Depth=2
	s_andn2_saveexec_b64 s[72:73], s[72:73]
; %bb.1390:                             ;   in Loop: Header=BB4_900 Depth=2
	v_cmp_lt_i32_e32 vcc, -1, v28
	v_cndmask_b32_e32 v27, v49, v11, vcc
; %bb.1391:                             ;   in Loop: Header=BB4_900 Depth=2
	s_or_b64 exec, exec, s[72:73]
.LBB4_1392:                             ;   in Loop: Header=BB4_900 Depth=2
	s_or_b64 exec, exec, s[16:17]
	v_mov_b32_e32 v18, v3
	v_cmp_lt_u64_e32 vcc, s[46:47], v[18:19]
	v_mov_b32_e32 v17, 0
	v_mov_b32_e32 v28, 0
	s_and_saveexec_b64 s[16:17], vcc
	s_cbranch_execz .LBB4_1400
; %bb.1393:                             ;   in Loop: Header=BB4_900 Depth=2
	v_lshrrev_b32_e32 v0, 24, v19
	v_cmp_ne_u32_e32 vcc, s48, v0
	v_bfrev_b32_e32 v28, 1
	s_and_saveexec_b64 s[72:73], vcc
	s_cbranch_execz .LBB4_1399
; %bb.1394:                             ;   in Loop: Header=BB4_900 Depth=2
	v_and_b32_e32 v28, 0x7c000000, v19
	v_bfe_u32 v30, v19, 24, 2
	v_cmp_ne_u32_e32 vcc, s52, v28
                                        ; implicit-def: $vgpr28
	s_and_saveexec_b64 s[74:75], vcc
	s_xor_b64 s[74:75], exec, s[74:75]
	s_cbranch_execz .LBB4_1396
; %bb.1395:                             ;   in Loop: Header=BB4_900 Depth=2
	v_ffbh_u32_e32 v28, v30
	v_min_u32_e32 v28, 32, v28
	v_subrev_u32_e32 v32, 29, v28
	v_bfe_u32 v18, v19, 26, 5
	v_lshlrev_b64 v[32:33], v32, v[0:1]
	v_sub_u32_e32 v0, 30, v28
	v_cmp_eq_u32_e32 vcc, 0, v18
	v_and_b32_e32 v28, 3, v32
	v_cndmask_b32_e32 v0, v18, v0, vcc
	v_and_b32_e32 v19, 0x80000000, v19
	v_cndmask_b32_e32 v18, v30, v28, vcc
	v_lshl_add_u32 v0, v0, 23, v19
	v_lshl_or_b32 v0, v18, 21, v0
	v_add_u32_e32 v28, 0x38000000, v0
                                        ; implicit-def: $vgpr30
                                        ; implicit-def: $vgpr18_vgpr19
.LBB4_1396:                             ;   in Loop: Header=BB4_900 Depth=2
	s_andn2_saveexec_b64 s[74:75], s[74:75]
; %bb.1397:                             ;   in Loop: Header=BB4_900 Depth=2
	v_cmp_lt_i64_e32 vcc, -1, v[18:19]
	v_cndmask_b32_e32 v0, v8, v54, vcc
	v_cmp_eq_u32_e32 vcc, 0, v30
	v_cndmask_b32_e32 v28, v55, v0, vcc
; %bb.1398:                             ;   in Loop: Header=BB4_900 Depth=2
	s_or_b64 exec, exec, s[74:75]
.LBB4_1399:                             ;   in Loop: Header=BB4_900 Depth=2
	s_or_b64 exec, exec, s[72:73]
.LBB4_1400:                             ;   in Loop: Header=BB4_900 Depth=2
	s_or_b64 exec, exec, s[16:17]
	v_cmp_lt_u32_e32 vcc, s47, v2
	s_and_saveexec_b64 s[16:17], vcc
	s_cbranch_execz .LBB4_1408
; %bb.1401:                             ;   in Loop: Header=BB4_900 Depth=2
	v_lshrrev_b32_e32 v0, 24, v2
	v_cmp_ne_u32_e32 vcc, s48, v0
	v_bfrev_b32_e32 v17, 1
	s_and_saveexec_b64 s[72:73], vcc
	s_cbranch_execz .LBB4_1407
; %bb.1402:                             ;   in Loop: Header=BB4_900 Depth=2
	v_and_b32_e32 v17, 0x7c000000, v2
	v_bfe_u32 v18, v2, 24, 2
	v_cmp_ne_u32_e32 vcc, s52, v17
                                        ; implicit-def: $vgpr17
	s_and_saveexec_b64 s[74:75], vcc
	s_xor_b64 s[74:75], exec, s[74:75]
	s_cbranch_execz .LBB4_1404
; %bb.1403:                             ;   in Loop: Header=BB4_900 Depth=2
	v_ffbh_u32_e32 v19, v18
	v_min_u32_e32 v19, 32, v19
	v_subrev_u32_e32 v30, 29, v19
	v_bfe_u32 v17, v2, 26, 5
	v_lshlrev_b64 v[32:33], v30, v[0:1]
	v_sub_u32_e32 v0, 30, v19
	v_cmp_eq_u32_e32 vcc, 0, v17
	v_and_b32_e32 v19, 3, v32
	v_cndmask_b32_e32 v0, v17, v0, vcc
	v_and_b32_e32 v2, 0x80000000, v2
	v_cndmask_b32_e32 v17, v18, v19, vcc
	v_lshl_add_u32 v0, v0, 23, v2
	v_lshl_or_b32 v0, v17, 21, v0
	v_add_u32_e32 v17, 0x38000000, v0
                                        ; implicit-def: $vgpr18
.LBB4_1404:                             ;   in Loop: Header=BB4_900 Depth=2
	s_andn2_saveexec_b64 s[74:75], s[74:75]
; %bb.1405:                             ;   in Loop: Header=BB4_900 Depth=2
	v_cmp_lt_i32_e32 vcc, -1, v2
	v_cndmask_b32_e32 v0, v8, v54, vcc
	v_cmp_eq_u32_e32 vcc, 0, v18
	v_cndmask_b32_e32 v17, v55, v0, vcc
; %bb.1406:                             ;   in Loop: Header=BB4_900 Depth=2
	s_or_b64 exec, exec, s[74:75]
.LBB4_1407:                             ;   in Loop: Header=BB4_900 Depth=2
	s_or_b64 exec, exec, s[72:73]
.LBB4_1408:                             ;   in Loop: Header=BB4_900 Depth=2
	s_or_b64 exec, exec, s[16:17]
	v_add_f32_e32 v17, v28, v17
	v_and_b32_e32 v18, 0x7f800000, v17
	v_mov_b32_e32 v19, v3
	v_cmp_ne_u64_e32 vcc, s[56:57], v[18:19]
	v_and_b32_e32 v2, 0x7fffff, v17
                                        ; implicit-def: $vgpr18
	s_and_saveexec_b64 s[16:17], vcc
	s_xor_b64 s[72:73], exec, s[16:17]
	s_cbranch_execz .LBB4_1422
; %bb.1409:                             ;   in Loop: Header=BB4_900 Depth=2
	v_and_b32_e32 v18, 0x7fffffff, v17
	v_mov_b32_e32 v19, v3
	v_cmp_gt_u64_e32 vcc, s[58:59], v[18:19]
	v_and_b32_sdwa v0, v17, s48 dst_sel:DWORD dst_unused:UNUSED_PAD src0_sel:BYTE_3 src1_sel:DWORD
                                        ; implicit-def: $vgpr18
	s_and_saveexec_b64 s[16:17], vcc
	s_xor_b64 s[74:75], exec, s[16:17]
	s_cbranch_execz .LBB4_1419
; %bb.1410:                             ;   in Loop: Header=BB4_900 Depth=2
	v_mov_b32_e32 v18, 0
	v_cmp_ne_u32_e32 vcc, 0, v17
	s_and_saveexec_b64 s[76:77], vcc
	s_cbranch_execz .LBB4_1418
; %bb.1411:                             ;   in Loop: Header=BB4_900 Depth=2
	v_bfe_u32 v28, v17, 23, 8
	v_cmp_gt_u32_e64 s[16:17], s49, v28
	v_sub_u32_e32 v17, 0x71, v28
	v_cmp_eq_u32_e32 vcc, 0, v28
	v_cndmask_b32_e64 v17, 0, v17, s[16:17]
	v_cndmask_b32_e32 v30, v17, v12, vcc
	v_or_b32_e32 v18, 0x800000, v2
	v_add_u32_e32 v17, 21, v30
	v_cndmask_b32_e32 v2, v18, v2, vcc
	v_lshlrev_b64 v[17:18], v17, -1
	v_add_u32_e32 v19, 20, v30
	v_lshlrev_b64 v[32:33], v19, 1
	v_bfi_b32 v18, v18, 0, 0
	v_bfi_b32 v17, v17, 0, v2
	v_cmp_eq_u64_e64 s[16:17], v[17:18], v[32:33]
	v_lshrrev_b64 v[17:18], v30, v[2:3]
	v_mov_b32_e32 v19, v18
	v_mov_b32_e32 v18, v17
	s_and_saveexec_b64 s[78:79], s[16:17]
; %bb.1412:                             ;   in Loop: Header=BB4_900 Depth=2
	v_bfe_u32 v2, v17, 21, 1
	v_add_co_u32_e64 v2, s[16:17], v17, v2
	v_add_co_u32_e64 v18, s[16:17], -1, v2
; %bb.1413:                             ;   in Loop: Header=BB4_900 Depth=2
	s_or_b64 exec, exec, s[78:79]
	v_add_u32_e32 v2, 0xffffff81, v28
	v_cndmask_b32_e32 v2, v2, v48, vcc
	v_lshrrev_b32_e32 v19, 23, v17
	v_add3_u32 v30, v30, v2, v19
	v_add_u32_e32 v28, 14, v30
	v_and_b32_e32 v2, 0x1fffff, v18
	v_add_u32_e32 v2, v2, v17
	v_cmp_ne_u32_e32 vcc, 0, v28
                                        ; implicit-def: $vgpr17_vgpr18
                                        ; implicit-def: $vgpr19
	s_and_saveexec_b64 s[16:17], vcc
	s_xor_b64 s[16:17], exec, s[16:17]
; %bb.1414:                             ;   in Loop: Header=BB4_900 Depth=2
	v_cmp_lt_u64_e32 vcc, s[60:61], v[2:3]
	v_add_u32_e32 v17, 15, v30
	v_cndmask_b32_e32 v19, v28, v17, vcc
	v_cndmask_b32_e64 v17, 0, 1, vcc
	v_lshrrev_b64 v[17:18], v17, v[2:3]
; %bb.1415:                             ;   in Loop: Header=BB4_900 Depth=2
	s_andn2_saveexec_b64 s[16:17], s[16:17]
; %bb.1416:                             ;   in Loop: Header=BB4_900 Depth=2
	v_mov_b32_e32 v18, v3
	v_bfe_u32 v19, v2, 23, 1
	v_mov_b32_e32 v17, v2
; %bb.1417:                             ;   in Loop: Header=BB4_900 Depth=2
	s_or_b64 exec, exec, s[16:17]
	v_lshrrev_b64 v[17:18], 21, v[17:18]
	v_cmp_gt_i32_e32 vcc, 32, v19
	v_cndmask_b32_e32 v18, 0, v18, vcc
	v_cndmask_b32_e32 v17, 3, v17, vcc
	v_min_i32_e32 v2, 31, v19
	v_cmp_eq_u64_e64 s[16:17], 0, v[17:18]
	v_lshlrev_b32_e32 v2, 2, v2
	v_cmp_eq_u32_e32 vcc, 0, v19
	v_and_b32_e32 v2, 0xfc, v2
	v_and_or_b32 v2, v17, 3, v2
	s_and_b64 s[16:17], vcc, s[16:17]
	v_cndmask_b32_e64 v2, v2, 0, s[16:17]
	v_or_b32_e32 v18, v2, v0
.LBB4_1418:                             ;   in Loop: Header=BB4_900 Depth=2
	s_or_b64 exec, exec, s[76:77]
                                        ; implicit-def: $vgpr0
.LBB4_1419:                             ;   in Loop: Header=BB4_900 Depth=2
	s_andn2_saveexec_b64 s[16:17], s[74:75]
; %bb.1420:                             ;   in Loop: Header=BB4_900 Depth=2
	v_or_b32_e32 v18, 0x7b, v0
; %bb.1421:                             ;   in Loop: Header=BB4_900 Depth=2
	s_or_b64 exec, exec, s[16:17]
                                        ; implicit-def: $vgpr17
.LBB4_1422:                             ;   in Loop: Header=BB4_900 Depth=2
	s_andn2_saveexec_b64 s[16:17], s[72:73]
	s_cbranch_execz .LBB4_1428
; %bb.1423:                             ;   in Loop: Header=BB4_900 Depth=2
	v_cmp_ne_u64_e32 vcc, 0, v[2:3]
                                        ; implicit-def: $vgpr18
	s_and_saveexec_b64 s[72:73], vcc
	s_xor_b64 s[72:73], exec, s[72:73]
; %bb.1424:                             ;   in Loop: Header=BB4_900 Depth=2
	v_or_b32_sdwa v18, v17, s50 dst_sel:DWORD dst_unused:UNUSED_PAD src0_sel:BYTE_3 src1_sel:DWORD
                                        ; implicit-def: $vgpr17
; %bb.1425:                             ;   in Loop: Header=BB4_900 Depth=2
	s_andn2_saveexec_b64 s[72:73], s[72:73]
; %bb.1426:                             ;   in Loop: Header=BB4_900 Depth=2
	v_cmp_lt_i32_e32 vcc, -1, v17
	v_cndmask_b32_e32 v18, v49, v11, vcc
; %bb.1427:                             ;   in Loop: Header=BB4_900 Depth=2
	s_or_b64 exec, exec, s[72:73]
.LBB4_1428:                             ;   in Loop: Header=BB4_900 Depth=2
	s_or_b64 exec, exec, s[16:17]
	v_lshlrev_b32_e32 v0, 16, v29
	v_lshlrev_b32_e32 v2, 24, v23
	v_lshl_or_b32 v0, v31, 8, v0
	v_or3_b32 v17, v0, v2, v10
	v_lshlrev_b32_e32 v2, 16, v27
	v_lshlrev_b32_e32 v0, 24, v18
	v_lshl_or_b32 v2, v24, 8, v2
	v_cmp_lt_u32_e32 vcc, 7, v4
	v_or3_b32 v18, v2, v0, v20
	s_cmp_lg_u64 vcc, exec
	s_mov_b64 s[16:17], -1
	s_cbranch_scc0 .LBB4_1438
; %bb.1429:                             ;   in Loop: Header=BB4_900 Depth=2
	v_cmp_ne_u32_e64 s[16:17], 1, v4
	flat_store_byte v[46:47], v10
	s_and_saveexec_b64 s[72:73], s[16:17]
	s_cbranch_execnz .LBB4_1440
; %bb.1430:                             ;   in Loop: Header=BB4_900 Depth=2
	s_or_b64 exec, exec, s[72:73]
	v_cmp_lt_u32_e64 s[16:17], 2, v4
	s_and_saveexec_b64 s[72:73], s[16:17]
	s_cbranch_execnz .LBB4_1441
.LBB4_1431:                             ;   in Loop: Header=BB4_900 Depth=2
	s_or_b64 exec, exec, s[72:73]
	v_cmp_lt_u32_e64 s[16:17], 3, v4
	s_and_saveexec_b64 s[72:73], s[16:17]
	s_cbranch_execnz .LBB4_1442
.LBB4_1432:                             ;   in Loop: Header=BB4_900 Depth=2
	s_or_b64 exec, exec, s[72:73]
	v_cmp_lt_u32_e64 s[16:17], 4, v4
	s_and_saveexec_b64 s[72:73], s[16:17]
	s_cbranch_execnz .LBB4_1443
.LBB4_1433:                             ;   in Loop: Header=BB4_900 Depth=2
	s_or_b64 exec, exec, s[72:73]
	v_cmp_lt_u32_e64 s[16:17], 5, v4
	s_and_saveexec_b64 s[72:73], s[16:17]
	s_cbranch_execnz .LBB4_1444
.LBB4_1434:                             ;   in Loop: Header=BB4_900 Depth=2
	s_or_b64 exec, exec, s[72:73]
	v_cmp_lt_u32_e64 s[16:17], 6, v4
	s_and_saveexec_b64 s[72:73], s[16:17]
	s_cbranch_execnz .LBB4_1445
.LBB4_1435:                             ;   in Loop: Header=BB4_900 Depth=2
	s_or_b64 exec, exec, s[72:73]
	s_and_saveexec_b64 s[16:17], vcc
	s_cbranch_execz .LBB4_1437
.LBB4_1436:                             ;   in Loop: Header=BB4_900 Depth=2
	v_lshrrev_b32_e32 v0, 24, v18
	flat_store_byte v[46:47], v0 offset:7
.LBB4_1437:                             ;   in Loop: Header=BB4_900 Depth=2
	s_or_b64 exec, exec, s[16:17]
	s_mov_b64 s[16:17], 0
.LBB4_1438:                             ;   in Loop: Header=BB4_900 Depth=2
	s_and_b64 vcc, exec, s[16:17]
	s_cbranch_vccz .LBB4_899
; %bb.1439:                             ;   in Loop: Header=BB4_900 Depth=2
	global_store_dwordx2 v[46:47], v[17:18], off
	s_branch .LBB4_899
.LBB4_1440:                             ;   in Loop: Header=BB4_900 Depth=2
	v_lshrrev_b32_e32 v0, 8, v17
	flat_store_byte v[46:47], v0 offset:1
	s_or_b64 exec, exec, s[72:73]
	v_cmp_lt_u32_e64 s[16:17], 2, v4
	s_and_saveexec_b64 s[72:73], s[16:17]
	s_cbranch_execz .LBB4_1431
.LBB4_1441:                             ;   in Loop: Header=BB4_900 Depth=2
	flat_store_byte_d16_hi v[46:47], v17 offset:2
	s_or_b64 exec, exec, s[72:73]
	v_cmp_lt_u32_e64 s[16:17], 3, v4
	s_and_saveexec_b64 s[72:73], s[16:17]
	s_cbranch_execz .LBB4_1432
.LBB4_1442:                             ;   in Loop: Header=BB4_900 Depth=2
	v_lshrrev_b32_e32 v0, 24, v17
	flat_store_byte v[46:47], v0 offset:3
	s_or_b64 exec, exec, s[72:73]
	v_cmp_lt_u32_e64 s[16:17], 4, v4
	s_and_saveexec_b64 s[72:73], s[16:17]
	s_cbranch_execz .LBB4_1433
.LBB4_1443:                             ;   in Loop: Header=BB4_900 Depth=2
	flat_store_byte v[46:47], v20 offset:4
	s_or_b64 exec, exec, s[72:73]
	v_cmp_lt_u32_e64 s[16:17], 5, v4
	s_and_saveexec_b64 s[72:73], s[16:17]
	s_cbranch_execz .LBB4_1434
.LBB4_1444:                             ;   in Loop: Header=BB4_900 Depth=2
	v_lshrrev_b32_e32 v0, 8, v18
	flat_store_byte v[46:47], v0 offset:5
	s_or_b64 exec, exec, s[72:73]
	v_cmp_lt_u32_e64 s[16:17], 6, v4
	s_and_saveexec_b64 s[72:73], s[16:17]
	s_cbranch_execz .LBB4_1435
.LBB4_1445:                             ;   in Loop: Header=BB4_900 Depth=2
	flat_store_byte_d16_hi v[46:47], v18 offset:6
	s_or_b64 exec, exec, s[72:73]
	s_and_saveexec_b64 s[16:17], vcc
	s_cbranch_execnz .LBB4_1436
	s_branch .LBB4_1437
.LBB4_1446:                             ;   in Loop: Header=BB4_32 Depth=1
	s_or_b64 exec, exec, s[62:63]
	buffer_load_dword v43, off, s[0:3], s32 offset:68 ; 4-byte Folded Reload
	buffer_load_dword v44, off, s[0:3], s32 offset:72 ; 4-byte Folded Reload
.LBB4_1447:                             ;   in Loop: Header=BB4_32 Depth=1
	s_or_b64 exec, exec, s[18:19]
	buffer_load_dword v17, off, s[0:3], s32 offset:164 ; 4-byte Folded Reload
	buffer_load_dword v18, off, s[0:3], s32 offset:168 ; 4-byte Folded Reload
	;; [unrolled: 1-line block ×8, first 2 shown]
	s_waitcnt vmcnt(0)
	v_mov_b32_e32 v27, v20
	v_mov_b32_e32 v26, v19
	s_and_saveexec_b64 s[16:17], s[10:11]
	s_cbranch_execz .LBB4_1466
; %bb.1448:                             ;   in Loop: Header=BB4_32 Depth=1
	s_and_saveexec_b64 s[18:19], s[40:41]
	s_xor_b64 s[18:19], exec, s[18:19]
	s_cbranch_execz .LBB4_1463
; %bb.1449:                             ;   in Loop: Header=BB4_32 Depth=1
	s_and_saveexec_b64 s[62:63], s[12:13]
	s_cbranch_execz .LBB4_1462
; %bb.1450:                             ;   in Loop: Header=BB4_32 Depth=1
	s_mov_b64 s[74:75], exec
	s_waitcnt lgkmcnt(0)
	v_mbcnt_lo_u32_b32 v0, s74, 0
	v_mbcnt_hi_u32_b32 v0, s75, v0
	v_cmp_eq_u32_e32 vcc, 0, v0
	buffer_wbinvl1_vol
	s_and_saveexec_b64 s[72:73], vcc
	s_cbranch_execz .LBB4_1452
; %bb.1451:                             ;   in Loop: Header=BB4_32 Depth=1
	s_bcnt1_i32_b64 s26, s[74:75]
	v_mov_b32_e32 v2, s26
	ds_add_u64 v0, v[2:3]
	s_trap 2
.LBB4_1452:                             ;   in Loop: Header=BB4_32 Depth=1
	s_or_b64 exec, exec, s[72:73]
	s_trap 2
	ds_read_b64 v[17:18], v0
	s_waitcnt lgkmcnt(0)
	buffer_load_dword v0, off, s[0:3], s32 offset:132 ; 4-byte Folded Reload
	s_waitcnt vmcnt(0)
	v_add_co_u32_e32 v40, vcc, v40, v0
	v_addc_co_u32_e32 v41, vcc, 0, v41, vcc
	v_cmp_lt_u64_e32 vcc, v[17:18], v[40:41]
	s_and_saveexec_b64 s[72:73], vcc
	s_cbranch_execz .LBB4_1461
; %bb.1453:                             ;   in Loop: Header=BB4_32 Depth=1
	s_mov_b32 s26, 0
	s_mov_b64 s[74:75], 0
                                        ; implicit-def: $sgpr76_sgpr77
                                        ; implicit-def: $sgpr78_sgpr79
	s_branch .LBB4_1455
.LBB4_1454:                             ;   in Loop: Header=BB4_1455 Depth=2
	s_or_b64 exec, exec, s[90:91]
	s_and_b64 s[88:89], exec, s[92:93]
	s_or_b64 s[74:75], s[88:89], s[74:75]
	s_andn2_b64 s[76:77], s[76:77], exec
	s_and_b64 s[88:89], s[78:79], exec
	s_or_b64 s[76:77], s[76:77], s[88:89]
	s_andn2_b64 exec, exec, s[74:75]
	s_cbranch_execz .LBB4_1459
.LBB4_1455:                             ;   Parent Loop BB4_32 Depth=1
                                        ; =>  This Inner Loop Header: Depth=2
	s_add_i32 s26, s26, 1
	s_cmpk_lg_i32 s26, 0x2710
	s_cselect_b64 s[88:89], -1, 0
	s_and_b64 vcc, exec, s[88:89]
	s_cbranch_vccz .LBB4_1457
; %bb.1456:                             ;   in Loop: Header=BB4_1455 Depth=2
	s_mov_b64 s[92:93], -1
	s_or_b64 s[78:79], s[78:79], exec
	s_and_saveexec_b64 s[90:91], s[88:89]
	s_cbranch_execz .LBB4_1454
	s_branch .LBB4_1458
.LBB4_1457:                             ;   in Loop: Header=BB4_1455 Depth=2
	s_trap 2
	ds_read_b64 v[17:18], v0
	s_andn2_b64 s[88:89], s[88:89], exec
	s_mov_b32 s26, 0
	s_waitcnt lgkmcnt(0)
	flat_load_dword v0, v[17:18] glc
	s_waitcnt vmcnt(0) lgkmcnt(0)
	buffer_wbinvl1_vol
	v_cmp_eq_u32_e32 vcc, 0, v0
	s_and_b64 s[90:91], vcc, exec
	s_or_b64 s[88:89], s[88:89], s[90:91]
	s_mov_b64 s[92:93], -1
	s_or_b64 s[78:79], s[78:79], exec
	s_and_saveexec_b64 s[90:91], s[88:89]
	s_cbranch_execz .LBB4_1454
.LBB4_1458:                             ;   in Loop: Header=BB4_1455 Depth=2
	s_sleep 1
	s_trap 2
	ds_read_b64 v[17:18], v0
	s_waitcnt lgkmcnt(0)
	s_andn2_b64 s[78:79], s[78:79], exec
	v_cmp_ge_u64_e32 vcc, v[17:18], v[40:41]
	s_orn2_b64 s[92:93], vcc, exec
	s_branch .LBB4_1454
.LBB4_1459:                             ;   in Loop: Header=BB4_32 Depth=1
	s_or_b64 exec, exec, s[74:75]
	s_and_saveexec_b64 s[74:75], s[76:77]
	s_xor_b64 s[74:75], exec, s[74:75]
	s_cbranch_execz .LBB4_1461
; %bb.1460:                             ;   in Loop: Header=BB4_32 Depth=1
	v_mov_b32_e32 v0, 1
	ds_write_b32 v0, v0
	s_trap 2
.LBB4_1461:                             ;   in Loop: Header=BB4_32 Depth=1
	s_or_b64 exec, exec, s[72:73]
	;;#ASMSTART
	s_wakeup
	;;#ASMEND
.LBB4_1462:                             ;   in Loop: Header=BB4_32 Depth=1
	s_or_b64 exec, exec, s[62:63]
.LBB4_1463:                             ;   in Loop: Header=BB4_32 Depth=1
	s_andn2_saveexec_b64 s[18:19], s[18:19]
	s_cbranch_execz .LBB4_1465
; %bb.1464:                             ;   in Loop: Header=BB4_32 Depth=1
	s_waitcnt lgkmcnt(0)
	buffer_wbinvl1_vol
	s_barrier
.LBB4_1465:                             ;   in Loop: Header=BB4_32 Depth=1
	s_or_b64 exec, exec, s[18:19]
.LBB4_1466:                             ;   in Loop: Header=BB4_32 Depth=1
	s_or_b64 exec, exec, s[16:17]
	s_and_saveexec_b64 s[16:17], s[14:15]
	s_cbranch_execz .LBB4_31
; %bb.1467:                             ;   in Loop: Header=BB4_32 Depth=1
	buffer_load_dword v17, off, s[0:3], s32 offset:96 ; 4-byte Folded Reload
	buffer_load_dword v18, off, s[0:3], s32 offset:100 ; 4-byte Folded Reload
	v_add_co_u32_e32 v43, vcc, 1, v43
	v_addc_co_u32_e32 v44, vcc, 0, v44, vcc
	s_waitcnt vmcnt(0)
	flat_store_dwordx2 v[17:18], v[43:44]
	s_branch .LBB4_31
.LBB4_1468:
	s_or_b64 exec, exec, s[28:29]
	buffer_load_dword v31, off, s[0:3], s32 offset:244 ; 4-byte Folded Reload
	buffer_load_dword v11, off, s[0:3], s32 offset:248 ; 4-byte Folded Reload
	;; [unrolled: 1-line block ×6, first 2 shown]
	s_or_b64 exec, exec, s[24:25]
	s_and_saveexec_b64 s[6:7], s[22:23]
	s_cbranch_execz .LBB4_28
.LBB4_1469:
	s_waitcnt vmcnt(0) lgkmcnt(0)
	flat_store_dwordx2 v[28:29], v[43:44] offset:104
	s_or_b64 exec, exec, s[6:7]
	s_and_saveexec_b64 s[6:7], s[4:5]
	s_cbranch_execz .LBB4_29
.LBB4_1470:
	s_waitcnt vmcnt(0) lgkmcnt(0)
	flat_store_dwordx2 v[8:9], v[15:16] offset:104
	s_or_b64 exec, exec, s[6:7]
	v_cmp_ne_u32_e32 vcc, 64, v1
	s_and_saveexec_b64 s[4:5], vcc
	s_cbranch_execz .LBB4_1488
.LBB4_1471:
	s_waitcnt vmcnt(0)
	v_cmp_ne_u32_sdwa s[6:7], v1, v11 src0_sel:DWORD src1_sel:WORD_0
	s_and_saveexec_b64 s[8:9], s[6:7]
	s_xor_b64 s[6:7], exec, s[8:9]
	s_cbranch_execz .LBB4_1486
; %bb.1472:
	s_waitcnt lgkmcnt(0)
	v_and_b32_e32 v0, 63, v31
	v_cmp_eq_u32_e32 vcc, 0, v0
	s_and_saveexec_b64 s[8:9], vcc
	s_cbranch_execz .LBB4_1485
; %bb.1473:
	s_mov_b64 s[12:13], exec
	v_mbcnt_lo_u32_b32 v0, s12, 0
	v_mbcnt_hi_u32_b32 v0, s13, v0
	v_cmp_eq_u32_e32 vcc, 0, v0
	buffer_wbinvl1_vol
	s_and_saveexec_b64 s[10:11], vcc
	s_cbranch_execz .LBB4_1475
; %bb.1474:
	s_bcnt1_i32_b64 s12, s[12:13]
	v_mov_b32_e32 v2, s12
	v_mov_b32_e32 v3, 0
	ds_add_u64 v0, v[2:3]
	s_trap 2
.LBB4_1475:
	s_or_b64 exec, exec, s[10:11]
	v_lshrrev_b32_e32 v0, 6, v1
	s_trap 2
	ds_read_b64 v[2:3], v0
	s_waitcnt lgkmcnt(0)
	v_add_co_u32_e32 v0, vcc, v40, v0
	v_addc_co_u32_e32 v1, vcc, 0, v41, vcc
	v_cmp_lt_u64_e32 vcc, v[2:3], v[0:1]
	s_and_saveexec_b64 s[10:11], vcc
	s_cbranch_execz .LBB4_1484
; %bb.1476:
	s_mov_b32 s24, 0
	s_mov_b64 s[12:13], 0
                                        ; implicit-def: $sgpr14_sgpr15
                                        ; implicit-def: $sgpr16_sgpr17
	s_branch .LBB4_1478
.LBB4_1477:                             ;   in Loop: Header=BB4_1478 Depth=1
	s_or_b64 exec, exec, s[20:21]
	s_and_b64 s[18:19], exec, s[22:23]
	s_or_b64 s[12:13], s[18:19], s[12:13]
	s_andn2_b64 s[14:15], s[14:15], exec
	s_and_b64 s[18:19], s[16:17], exec
	s_or_b64 s[14:15], s[14:15], s[18:19]
	s_andn2_b64 exec, exec, s[12:13]
	s_cbranch_execz .LBB4_1482
.LBB4_1478:                             ; =>This Inner Loop Header: Depth=1
	s_add_i32 s24, s24, 1
	s_cmpk_lg_i32 s24, 0x2710
	s_cselect_b64 s[18:19], -1, 0
	s_and_b64 vcc, exec, s[18:19]
	s_cbranch_vccz .LBB4_1480
; %bb.1479:                             ;   in Loop: Header=BB4_1478 Depth=1
	s_mov_b64 s[22:23], -1
	s_or_b64 s[16:17], s[16:17], exec
	s_and_saveexec_b64 s[20:21], s[18:19]
	s_cbranch_execz .LBB4_1477
	s_branch .LBB4_1481
.LBB4_1480:                             ;   in Loop: Header=BB4_1478 Depth=1
	s_trap 2
	ds_read_b64 v[2:3], v0
	s_andn2_b64 s[18:19], s[18:19], exec
	s_mov_b32 s24, 0
	s_waitcnt lgkmcnt(0)
	flat_load_dword v2, v[2:3] glc
	s_waitcnt vmcnt(0) lgkmcnt(0)
	buffer_wbinvl1_vol
	v_cmp_eq_u32_e32 vcc, 0, v2
	s_and_b64 s[20:21], vcc, exec
	s_or_b64 s[18:19], s[18:19], s[20:21]
	s_mov_b64 s[22:23], -1
	s_or_b64 s[16:17], s[16:17], exec
	s_and_saveexec_b64 s[20:21], s[18:19]
	s_cbranch_execz .LBB4_1477
.LBB4_1481:                             ;   in Loop: Header=BB4_1478 Depth=1
	s_sleep 1
	s_trap 2
	ds_read_b64 v[2:3], v0
	s_waitcnt lgkmcnt(0)
	s_andn2_b64 s[16:17], s[16:17], exec
	v_cmp_ge_u64_e32 vcc, v[2:3], v[0:1]
	s_orn2_b64 s[22:23], vcc, exec
	s_branch .LBB4_1477
.LBB4_1482:
	s_or_b64 exec, exec, s[12:13]
	s_and_saveexec_b64 s[12:13], s[14:15]
	s_xor_b64 s[12:13], exec, s[12:13]
	s_cbranch_execz .LBB4_1484
; %bb.1483:
	v_mov_b32_e32 v0, 1
	ds_write_b32 v0, v0
	s_trap 2
.LBB4_1484:
	s_or_b64 exec, exec, s[10:11]
	;;#ASMSTART
	s_wakeup
	;;#ASMEND
.LBB4_1485:
	s_or_b64 exec, exec, s[8:9]
.LBB4_1486:
	s_andn2_saveexec_b64 s[6:7], s[6:7]
	s_cbranch_execz .LBB4_1488
; %bb.1487:
	s_waitcnt lgkmcnt(0)
	buffer_wbinvl1_vol
	s_barrier
.LBB4_1488:
	s_or_b64 exec, exec, s[4:5]
	buffer_load_dword v62, off, s[0:3], s32 ; 4-byte Folded Reload
	buffer_load_dword v61, off, s[0:3], s32 offset:4 ; 4-byte Folded Reload
	buffer_load_dword v60, off, s[0:3], s32 offset:8 ; 4-byte Folded Reload
	;; [unrolled: 1-line block ×9, first 2 shown]
	s_waitcnt lgkmcnt(0)
	buffer_load_dword v44, off, s[0:3], s32 offset:40 ; 4-byte Folded Reload
	buffer_load_dword v43, off, s[0:3], s32 offset:44 ; 4-byte Folded Reload
	;; [unrolled: 1-line block ×5, first 2 shown]
	v_readlane_b32 s30, v63, 12
	v_readlane_b32 s31, v63, 13
	;; [unrolled: 1-line block ×14, first 2 shown]
	s_or_saveexec_b64 s[4:5], -1
	buffer_load_dword v63, off, s[0:3], s32 offset:268 ; 4-byte Folded Reload
	s_mov_b64 exec, s[4:5]
	s_waitcnt vmcnt(0)
	s_setpc_b64 s[30:31]
.Lfunc_end4:
	.size	_ZN12_GLOBAL__N_17runRingI14__hip_fp8_e5m213FuncPreMulSumIS1_E7ProtoLLLi0ELi4ELi0EEEviiP15ncclDevWorkColl, .Lfunc_end4-_ZN12_GLOBAL__N_17runRingI14__hip_fp8_e5m213FuncPreMulSumIS1_E7ProtoLLLi0ELi4ELi0EEEviiP15ncclDevWorkColl
                                        ; -- End function
	.set .L_ZN12_GLOBAL__N_17runRingI14__hip_fp8_e5m213FuncPreMulSumIS1_E7ProtoLLLi0ELi4ELi0EEEviiP15ncclDevWorkColl.num_vgpr, 64
	.set .L_ZN12_GLOBAL__N_17runRingI14__hip_fp8_e5m213FuncPreMulSumIS1_E7ProtoLLLi0ELi4ELi0EEEviiP15ncclDevWorkColl.num_agpr, 0
	.set .L_ZN12_GLOBAL__N_17runRingI14__hip_fp8_e5m213FuncPreMulSumIS1_E7ProtoLLLi0ELi4ELi0EEEviiP15ncclDevWorkColl.numbered_sgpr, 96
	.set .L_ZN12_GLOBAL__N_17runRingI14__hip_fp8_e5m213FuncPreMulSumIS1_E7ProtoLLLi0ELi4ELi0EEEviiP15ncclDevWorkColl.num_named_barrier, 0
	.set .L_ZN12_GLOBAL__N_17runRingI14__hip_fp8_e5m213FuncPreMulSumIS1_E7ProtoLLLi0ELi4ELi0EEEviiP15ncclDevWorkColl.private_seg_size, 276
	.set .L_ZN12_GLOBAL__N_17runRingI14__hip_fp8_e5m213FuncPreMulSumIS1_E7ProtoLLLi0ELi4ELi0EEEviiP15ncclDevWorkColl.uses_vcc, 1
	.set .L_ZN12_GLOBAL__N_17runRingI14__hip_fp8_e5m213FuncPreMulSumIS1_E7ProtoLLLi0ELi4ELi0EEEviiP15ncclDevWorkColl.uses_flat_scratch, 0
	.set .L_ZN12_GLOBAL__N_17runRingI14__hip_fp8_e5m213FuncPreMulSumIS1_E7ProtoLLLi0ELi4ELi0EEEviiP15ncclDevWorkColl.has_dyn_sized_stack, 0
	.set .L_ZN12_GLOBAL__N_17runRingI14__hip_fp8_e5m213FuncPreMulSumIS1_E7ProtoLLLi0ELi4ELi0EEEviiP15ncclDevWorkColl.has_recursion, 0
	.set .L_ZN12_GLOBAL__N_17runRingI14__hip_fp8_e5m213FuncPreMulSumIS1_E7ProtoLLLi0ELi4ELi0EEEviiP15ncclDevWorkColl.has_indirect_call, 0
	.section	.AMDGPU.csdata,"",@progbits
; Function info:
; codeLenInByte = 39164
; TotalNumSgprs: 100
; NumVgprs: 64
; ScratchSize: 276
; MemoryBound: 0
	.text
	.p2align	2                               ; -- Begin function _Z56ncclDevFunc_ReduceScatter_RING_LL_PreMulSum_f8e5m2_0_0_4v
	.type	_Z56ncclDevFunc_ReduceScatter_RING_LL_PreMulSum_f8e5m2_0_0_4v,@function
_Z56ncclDevFunc_ReduceScatter_RING_LL_PreMulSum_f8e5m2_0_0_4v: ; @_Z56ncclDevFunc_ReduceScatter_RING_LL_PreMulSum_f8e5m2_0_0_4v
; %bb.0:
	s_waitcnt vmcnt(0) expcnt(0) lgkmcnt(0)
	s_mov_b32 s4, s33
	s_mov_b32 s33, s32
	s_or_saveexec_b64 s[6:7], -1
	buffer_store_dword v43, off, s[0:3], s33 offset:16 ; 4-byte Folded Spill
	s_mov_b64 exec, s[6:7]
	v_writelane_b32 v43, s4, 20
	s_addk_i32 s32, 0x800
	buffer_store_dword v40, off, s[0:3], s33 offset:12 ; 4-byte Folded Spill
	buffer_store_dword v41, off, s[0:3], s33 offset:8 ; 4-byte Folded Spill
	;; [unrolled: 1-line block ×3, first 2 shown]
	buffer_store_dword v63, off, s[0:3], s33 ; 4-byte Folded Spill
	v_writelane_b32 v43, s34, 0
	v_writelane_b32 v43, s35, 1
	;; [unrolled: 1-line block ×20, first 2 shown]
	s_trap 2
	ds_read_b32 v0, v0
	v_mov_b32_e32 v40, v31
	v_and_b32_e32 v41, 0x3ff, v40
	s_mov_b32 s64, s12
	s_mov_b64 s[54:55], s[8:9]
	s_waitcnt lgkmcnt(0)
	v_cmp_lt_i32_e32 vcc, v41, v0
	s_and_saveexec_b64 s[4:5], vcc
	s_cbranch_execz .LBB5_5
; %bb.1:
	s_load_dword s6, s[54:55], 0x0
	v_mov_b32_e32 v1, 0
	s_mov_b32 s10, 0
	v_mov_b32_e32 v4, v41
                                        ; implicit-def: $vgpr3
	s_waitcnt lgkmcnt(0)
	s_cmp_lt_u32 s64, s6
	s_cselect_b32 s6, 12, 18
	s_add_u32 s6, s54, s6
	s_addc_u32 s7, s55, 0
	global_load_ushort v1, v1, s[6:7]
	s_trap 2
	ds_read_b32 v2, v0
	s_mov_b64 s[6:7], 0
	s_waitcnt vmcnt(0) lgkmcnt(0)
	v_mul_lo_u32 v2, v2, v1
	s_branch .LBB5_3
.LBB5_2:                                ;   in Loop: Header=BB5_3 Depth=1
	s_or_b64 exec, exec, s[8:9]
	v_add_u32_e32 v4, v4, v1
	v_cmp_ge_i32_e32 vcc, v4, v0
	s_or_b64 s[6:7], vcc, s[6:7]
	v_add_u32_e32 v3, v3, v2
	s_andn2_b64 exec, exec, s[6:7]
	s_cbranch_execz .LBB5_5
.LBB5_3:                                ; =>This Inner Loop Header: Depth=1
	ds_read_b32 v5, v3
	s_waitcnt lgkmcnt(0)
	v_and_b32_e32 v5, 0x1000000, v5
	v_cmp_ne_u32_e32 vcc, 0, v5
	s_and_saveexec_b64 s[8:9], vcc
	s_cbranch_execz .LBB5_2
; %bb.4:                                ;   in Loop: Header=BB5_3 Depth=1
	ds_read_b64 v[5:6], v3 offset:104
	s_waitcnt lgkmcnt(0)
	flat_load_ubyte v5, v[5:6]
	v_mov_b32_e32 v6, s10
	s_waitcnt vmcnt(0) lgkmcnt(0)
	v_and_b32_e32 v5, 0xffff, v5
	ds_write_b64 v3, v[5:6] offset:104
	s_branch .LBB5_2
.LBB5_5:
	s_or_b64 exec, exec, s[4:5]
	s_waitcnt vmcnt(0) lgkmcnt(0)
	s_barrier
	s_trap 2
	ds_read_b32 v0, v0
	s_waitcnt lgkmcnt(0)
	v_cmp_gt_i32_e32 vcc, 1, v0
	s_cbranch_vccnz .LBB5_13
; %bb.6:
	s_mov_b32 s65, 0
	v_mov_b32_e32 v42, 6
	s_branch .LBB5_8
.LBB5_7:                                ;   in Loop: Header=BB5_8 Depth=1
	s_or_b64 exec, exec, s[66:67]
	s_trap 2
	ds_read_b32 v0, v0
	s_add_i32 s65, s65, 1
	s_waitcnt lgkmcnt(0)
	v_cmp_lt_i32_e32 vcc, s65, v0
	s_cbranch_vccz .LBB5_13
.LBB5_8:                                ; =>This Inner Loop Header: Depth=1
	s_trap 2
	ds_read_b32 v0, v0
	s_cmp_eq_u32 s65, 0
	s_cbranch_scc1 .LBB5_11
; %bb.9:                                ;   in Loop: Header=BB5_8 Depth=1
	s_trap 2
	s_waitcnt lgkmcnt(0)
	ds_read_b32 v1, v0
	s_waitcnt lgkmcnt(0)
	v_xor_b32_e32 v1, v1, v0
	v_and_b32_e32 v1, 0xff0000, v1
	v_cmp_eq_u32_e32 vcc, 0, v1
	s_cbranch_vccnz .LBB5_11
; %bb.10:                               ;   in Loop: Header=BB5_8 Depth=1
	s_barrier
	ds_read_b32 v0, v0
.LBB5_11:                               ;   in Loop: Header=BB5_8 Depth=1
	s_waitcnt lgkmcnt(0)
	v_lshlrev_b32_sdwa v1, v42, v0 dst_sel:DWORD dst_unused:UNUSED_PAD src0_sel:DWORD src1_sel:BYTE_2
	v_cmp_lt_u32_e32 vcc, v41, v1
	s_and_saveexec_b64 s[66:67], vcc
	s_cbranch_execz .LBB5_7
; %bb.12:                               ;   in Loop: Header=BB5_8 Depth=1
	s_mov_b64 s[4:5], src_shared_base
	s_getpc_b64 s[6:7]
	s_add_u32 s6, s6, _ZN12_GLOBAL__N_17runRingI14__hip_fp8_e5m213FuncPreMulSumIS1_E7ProtoLLLi0ELi4ELi0EEEviiP15ncclDevWorkColl@rel32@lo+4
	s_addc_u32 s7, s7, _ZN12_GLOBAL__N_17runRingI14__hip_fp8_e5m213FuncPreMulSumIS1_E7ProtoLLLi0ELi4ELi0EEEviiP15ncclDevWorkColl@rel32@hi+12
	s_mov_b64 s[8:9], s[54:55]
	s_mov_b32 s12, s64
	v_mov_b32_e32 v31, v40
	v_mov_b32_e32 v0, v41
	;; [unrolled: 1-line block ×3, first 2 shown]
	s_swappc_b64 s[30:31], s[6:7]
	s_branch .LBB5_7
.LBB5_13:
	buffer_load_dword v63, off, s[0:3], s33 ; 4-byte Folded Reload
	buffer_load_dword v42, off, s[0:3], s33 offset:4 ; 4-byte Folded Reload
	buffer_load_dword v41, off, s[0:3], s33 offset:8 ; 4-byte Folded Reload
	;; [unrolled: 1-line block ×3, first 2 shown]
	v_readlane_b32 s30, v43, 18
	v_readlane_b32 s31, v43, 19
	;; [unrolled: 1-line block ×20, first 2 shown]
	s_mov_b32 s32, s33
	v_readlane_b32 s4, v43, 20
	s_or_saveexec_b64 s[6:7], -1
	buffer_load_dword v43, off, s[0:3], s33 offset:16 ; 4-byte Folded Reload
	s_mov_b64 exec, s[6:7]
	s_mov_b32 s33, s4
	s_waitcnt vmcnt(0)
	s_setpc_b64 s[30:31]
.Lfunc_end5:
	.size	_Z56ncclDevFunc_ReduceScatter_RING_LL_PreMulSum_f8e5m2_0_0_4v, .Lfunc_end5-_Z56ncclDevFunc_ReduceScatter_RING_LL_PreMulSum_f8e5m2_0_0_4v
                                        ; -- End function
	.set .L_Z56ncclDevFunc_ReduceScatter_RING_LL_PreMulSum_f8e5m2_0_0_4v.num_vgpr, max(64, .L_ZN12_GLOBAL__N_17runRingI14__hip_fp8_e5m213FuncPreMulSumIS1_E7ProtoLLLi0ELi4ELi0EEEviiP15ncclDevWorkColl.num_vgpr)
	.set .L_Z56ncclDevFunc_ReduceScatter_RING_LL_PreMulSum_f8e5m2_0_0_4v.num_agpr, max(0, .L_ZN12_GLOBAL__N_17runRingI14__hip_fp8_e5m213FuncPreMulSumIS1_E7ProtoLLLi0ELi4ELi0EEEviiP15ncclDevWorkColl.num_agpr)
	.set .L_Z56ncclDevFunc_ReduceScatter_RING_LL_PreMulSum_f8e5m2_0_0_4v.numbered_sgpr, max(68, .L_ZN12_GLOBAL__N_17runRingI14__hip_fp8_e5m213FuncPreMulSumIS1_E7ProtoLLLi0ELi4ELi0EEEviiP15ncclDevWorkColl.numbered_sgpr)
	.set .L_Z56ncclDevFunc_ReduceScatter_RING_LL_PreMulSum_f8e5m2_0_0_4v.num_named_barrier, max(0, .L_ZN12_GLOBAL__N_17runRingI14__hip_fp8_e5m213FuncPreMulSumIS1_E7ProtoLLLi0ELi4ELi0EEEviiP15ncclDevWorkColl.num_named_barrier)
	.set .L_Z56ncclDevFunc_ReduceScatter_RING_LL_PreMulSum_f8e5m2_0_0_4v.private_seg_size, 32+max(.L_ZN12_GLOBAL__N_17runRingI14__hip_fp8_e5m213FuncPreMulSumIS1_E7ProtoLLLi0ELi4ELi0EEEviiP15ncclDevWorkColl.private_seg_size)
	.set .L_Z56ncclDevFunc_ReduceScatter_RING_LL_PreMulSum_f8e5m2_0_0_4v.uses_vcc, or(1, .L_ZN12_GLOBAL__N_17runRingI14__hip_fp8_e5m213FuncPreMulSumIS1_E7ProtoLLLi0ELi4ELi0EEEviiP15ncclDevWorkColl.uses_vcc)
	.set .L_Z56ncclDevFunc_ReduceScatter_RING_LL_PreMulSum_f8e5m2_0_0_4v.uses_flat_scratch, or(0, .L_ZN12_GLOBAL__N_17runRingI14__hip_fp8_e5m213FuncPreMulSumIS1_E7ProtoLLLi0ELi4ELi0EEEviiP15ncclDevWorkColl.uses_flat_scratch)
	.set .L_Z56ncclDevFunc_ReduceScatter_RING_LL_PreMulSum_f8e5m2_0_0_4v.has_dyn_sized_stack, or(0, .L_ZN12_GLOBAL__N_17runRingI14__hip_fp8_e5m213FuncPreMulSumIS1_E7ProtoLLLi0ELi4ELi0EEEviiP15ncclDevWorkColl.has_dyn_sized_stack)
	.set .L_Z56ncclDevFunc_ReduceScatter_RING_LL_PreMulSum_f8e5m2_0_0_4v.has_recursion, or(1, .L_ZN12_GLOBAL__N_17runRingI14__hip_fp8_e5m213FuncPreMulSumIS1_E7ProtoLLLi0ELi4ELi0EEEviiP15ncclDevWorkColl.has_recursion)
	.set .L_Z56ncclDevFunc_ReduceScatter_RING_LL_PreMulSum_f8e5m2_0_0_4v.has_indirect_call, or(0, .L_ZN12_GLOBAL__N_17runRingI14__hip_fp8_e5m213FuncPreMulSumIS1_E7ProtoLLLi0ELi4ELi0EEEviiP15ncclDevWorkColl.has_indirect_call)
	.section	.AMDGPU.csdata,"",@progbits
; Function info:
; codeLenInByte = 928
; TotalNumSgprs: 100
; NumVgprs: 64
; ScratchSize: 308
; MemoryBound: 0
	.section	.AMDGPU.gpr_maximums,"",@progbits
	.set amdgpu.max_num_vgpr, 64
	.set amdgpu.max_num_agpr, 0
	.set amdgpu.max_num_sgpr, 96
	.section	.AMDGPU.csdata,"",@progbits
	.type	__hip_cuid_b830fcbf8b4c8734,@object ; @__hip_cuid_b830fcbf8b4c8734
	.section	.bss,"aw",@nobits
	.globl	__hip_cuid_b830fcbf8b4c8734
__hip_cuid_b830fcbf8b4c8734:
	.byte	0                               ; 0x0
	.size	__hip_cuid_b830fcbf8b4c8734, 1

	.ident	"AMD clang version 22.0.0git (https://github.com/RadeonOpenCompute/llvm-project roc-7.2.4 26084 f58b06dce1f9c15707c5f808fd002e18c2accf7e)"
	.section	".note.GNU-stack","",@progbits
	.addrsig
	.addrsig_sym _Z56ncclDevFunc_ReduceScatter_RING_LL_PreMulSum_f8e5m2_0_0_1v
	.addrsig_sym _Z56ncclDevFunc_ReduceScatter_RING_LL_PreMulSum_f8e5m2_0_0_2v
	.addrsig_sym _Z56ncclDevFunc_ReduceScatter_RING_LL_PreMulSum_f8e5m2_0_0_4v
	.addrsig_sym ncclShmem
	.addrsig_sym __hip_cuid_b830fcbf8b4c8734
	.amdgpu_metadata
---
amdhsa.kernels:  []
amdhsa.target:   amdgcn-amd-amdhsa--gfx906
amdhsa.version:
  - 1
  - 2
...

	.end_amdgpu_metadata
